;; amdgpu-corpus repo=ROCm/rocFFT kind=compiled arch=gfx1201 opt=O3
	.text
	.amdgcn_target "amdgcn-amd-amdhsa--gfx1201"
	.amdhsa_code_object_version 6
	.protected	bluestein_single_fwd_len1680_dim1_half_op_CI_CI ; -- Begin function bluestein_single_fwd_len1680_dim1_half_op_CI_CI
	.globl	bluestein_single_fwd_len1680_dim1_half_op_CI_CI
	.p2align	8
	.type	bluestein_single_fwd_len1680_dim1_half_op_CI_CI,@function
bluestein_single_fwd_len1680_dim1_half_op_CI_CI: ; @bluestein_single_fwd_len1680_dim1_half_op_CI_CI
; %bb.0:
	s_load_b128 s[8:11], s[0:1], 0x28
	v_mul_u32_u24_e32 v1, 0x24a, v0
	s_mov_b32 s2, exec_lo
	v_mov_b32_e32 v27, 0
	s_delay_alu instid0(VALU_DEP_2) | instskip(NEXT) | instid1(VALU_DEP_1)
	v_lshrrev_b32_e32 v1, 16, v1
	v_add_nc_u32_e32 v26, ttmp9, v1
	s_wait_kmcnt 0x0
	s_delay_alu instid0(VALU_DEP_1)
	v_cmpx_gt_u64_e64 s[8:9], v[26:27]
	s_cbranch_execz .LBB0_47
; %bb.1:
	s_clause 0x1
	s_load_b128 s[4:7], s[0:1], 0x18
	s_load_b64 s[16:17], s[0:1], 0x0
	v_mul_lo_u16 v1, 0x70, v1
	s_movk_i32 s2, 0xfd28
	s_mov_b32 s3, -1
	s_delay_alu instid0(VALU_DEP_1) | instskip(NEXT) | instid1(VALU_DEP_1)
	v_sub_nc_u16 v7, v0, v1
	v_and_b32_e32 v75, 0xffff, v7
	s_delay_alu instid0(VALU_DEP_1)
	v_lshlrev_b32_e32 v54, 2, v75
	s_wait_kmcnt 0x0
	s_load_b128 s[12:15], s[4:5], 0x0
	s_clause 0xd
	global_load_b32 v80, v54, s[16:17]
	global_load_b32 v77, v54, s[16:17] offset:448
	global_load_b32 v72, v54, s[16:17] offset:896
	;; [unrolled: 1-line block ×13, first 2 shown]
	v_add_nc_u32_e32 v10, 0x1200, v54
	s_wait_kmcnt 0x0
	v_mad_co_u64_u32 v[0:1], null, s14, v26, 0
	v_mad_co_u64_u32 v[2:3], null, s12, v75, 0
	s_mul_u64 s[4:5], s[12:13], 0x348
	s_mul_u64 s[2:3], s[12:13], s[2:3]
	v_add_co_u32 v24, s12, s16, v54
	s_lshl_b64 s[2:3], s[2:3], 2
	s_wait_alu 0xf1ff
	v_add_co_ci_u32_e64 v25, null, s17, 0, s12
	s_delay_alu instid0(VALU_DEP_3) | instskip(SKIP_1) | instid1(VALU_DEP_1)
	v_mad_co_u64_u32 v[4:5], null, s15, v26, v[1:2]
	v_mov_b32_e32 v1, v3
	v_mad_co_u64_u32 v[5:6], null, s13, v75, v[1:2]
	s_delay_alu instid0(VALU_DEP_3) | instskip(SKIP_1) | instid1(VALU_DEP_2)
	v_dual_mov_b32 v1, v4 :: v_dual_add_nc_u32 v6, 0xe00, v54
	v_add_nc_u32_e32 v4, 0x200, v54
	v_lshlrev_b64_e32 v[0:1], 2, v[0:1]
	s_delay_alu instid0(VALU_DEP_4) | instskip(SKIP_1) | instid1(VALU_DEP_2)
	v_mov_b32_e32 v3, v5
	v_add_nc_u32_e32 v5, 0x600, v54
	v_lshlrev_b64_e32 v[2:3], 2, v[2:3]
	s_delay_alu instid0(VALU_DEP_4) | instskip(SKIP_2) | instid1(VALU_DEP_2)
	v_add_co_u32 v0, vcc_lo, s10, v0
	v_add_co_ci_u32_e32 v1, vcc_lo, s11, v1, vcc_lo
	s_lshl_b64 s[10:11], s[4:5], 2
	v_add_co_u32 v0, vcc_lo, v0, v2
	s_wait_alu 0xfffd
	s_delay_alu instid0(VALU_DEP_2) | instskip(SKIP_1) | instid1(VALU_DEP_2)
	v_add_co_ci_u32_e32 v1, vcc_lo, v1, v3, vcc_lo
	s_wait_alu 0xfffe
	v_add_co_u32 v2, vcc_lo, v0, s10
	s_wait_alu 0xfffd
	s_delay_alu instid0(VALU_DEP_2)
	v_add_co_ci_u32_e32 v3, vcc_lo, s11, v1, vcc_lo
	s_clause 0x1
	global_load_b32 v8, v[0:1], off
	global_load_b32 v9, v[2:3], off
	v_add_co_u32 v0, vcc_lo, v2, s2
	s_wait_alu 0xfffd
	v_add_co_ci_u32_e32 v1, vcc_lo, s3, v3, vcc_lo
	s_delay_alu instid0(VALU_DEP_2) | instskip(SKIP_1) | instid1(VALU_DEP_2)
	v_add_co_u32 v2, vcc_lo, v0, s10
	s_wait_alu 0xfffd
	v_add_co_ci_u32_e32 v3, vcc_lo, s11, v1, vcc_lo
	s_clause 0x1
	global_load_b32 v11, v[0:1], off
	global_load_b32 v12, v[2:3], off
	v_add_co_u32 v0, vcc_lo, v2, s2
	s_wait_alu 0xfffd
	v_add_co_ci_u32_e32 v1, vcc_lo, s3, v3, vcc_lo
	s_delay_alu instid0(VALU_DEP_2) | instskip(SKIP_1) | instid1(VALU_DEP_2)
	v_add_co_u32 v2, vcc_lo, v0, s10
	s_wait_alu 0xfffd
	v_add_co_ci_u32_e32 v3, vcc_lo, s11, v1, vcc_lo
	global_load_b32 v13, v[0:1], off
	global_load_b32 v14, v[2:3], off
	v_add_co_u32 v0, vcc_lo, v2, s2
	s_wait_alu 0xfffd
	v_add_co_ci_u32_e32 v1, vcc_lo, s3, v3, vcc_lo
	s_delay_alu instid0(VALU_DEP_2) | instskip(SKIP_1) | instid1(VALU_DEP_2)
	v_add_co_u32 v2, vcc_lo, v0, s10
	s_wait_alu 0xfffd
	v_add_co_ci_u32_e32 v3, vcc_lo, s11, v1, vcc_lo
	global_load_b32 v15, v[0:1], off
	v_add_co_u32 v0, vcc_lo, v2, s2
	s_wait_alu 0xfffd
	v_add_co_ci_u32_e32 v1, vcc_lo, s3, v3, vcc_lo
	global_load_b32 v16, v[2:3], off
	global_load_b32 v17, v[0:1], off
	v_add_co_u32 v0, vcc_lo, v0, s10
	s_wait_alu 0xfffd
	v_add_co_ci_u32_e32 v1, vcc_lo, s11, v1, vcc_lo
	s_delay_alu instid0(VALU_DEP_2) | instskip(SKIP_1) | instid1(VALU_DEP_2)
	v_add_co_u32 v2, vcc_lo, v0, s2
	s_wait_alu 0xfffd
	v_add_co_ci_u32_e32 v3, vcc_lo, s3, v1, vcc_lo
	global_load_b32 v18, v[0:1], off
	v_add_co_u32 v0, vcc_lo, v2, s10
	s_wait_alu 0xfffd
	v_add_co_ci_u32_e32 v1, vcc_lo, s11, v3, vcc_lo
	global_load_b32 v19, v[2:3], off
	;; [unrolled: 4-line block ×4, first 2 shown]
	global_load_b32 v3, v[0:1], off
	s_load_b64 s[8:9], s[0:1], 0x38
	s_load_b128 s[4:7], s[6:7], 0x0
	v_cmp_gt_u16_e32 vcc_lo, 56, v7
	s_wait_loadcnt 0x1b
	v_lshrrev_b32_e32 v83, 16, v80
	s_wait_loadcnt 0x1a
	v_lshrrev_b32_e32 v79, 16, v77
	;; [unrolled: 2-line block ×5, first 2 shown]
	v_lshrrev_b32_e32 v70, 16, v68
	s_wait_loadcnt 0x11
	v_lshrrev_b32_e32 v69, 16, v67
	v_lshrrev_b32_e32 v66, 16, v65
	s_wait_loadcnt 0x10
	v_lshrrev_b32_e32 v64, 16, v63
	v_lshrrev_b32_e32 v62, 16, v61
	;; [unrolled: 1-line block ×3, first 2 shown]
	s_wait_loadcnt 0xf
	v_lshrrev_b32_e32 v60, 16, v59
	v_lshrrev_b32_e32 v58, 16, v57
	s_wait_loadcnt 0xe
	v_lshrrev_b32_e32 v56, 16, v55
	s_wait_loadcnt 0xd
	v_lshrrev_b32_e32 v21, 16, v8
	v_mul_f16_e32 v22, v83, v8
	s_wait_loadcnt 0xc
	v_lshrrev_b32_e32 v27, 16, v9
	v_mul_f16_e32 v28, v82, v9
	v_mul_f16_e32 v23, v83, v21
	v_fma_f16 v21, v80, v21, -v22
	s_delay_alu instid0(VALU_DEP_2)
	v_fmac_f16_e32 v23, v80, v8
	v_mul_f16_e32 v8, v82, v27
	v_fma_f16 v27, v81, v27, -v28
	s_wait_loadcnt 0xb
	v_lshrrev_b32_e32 v22, 16, v11
	v_mul_f16_e32 v28, v79, v11
	v_pack_b32_f16 v21, v23, v21
	v_fmac_f16_e32 v8, v81, v9
	s_wait_loadcnt 0xa
	v_lshrrev_b32_e32 v23, 16, v12
	v_mul_f16_e32 v9, v79, v22
	v_mul_f16_e32 v29, v78, v12
	v_fma_f16 v22, v77, v22, -v28
	v_pack_b32_f16 v8, v8, v27
	s_delay_alu instid0(VALU_DEP_4)
	v_fmac_f16_e32 v9, v77, v11
	v_mul_f16_e32 v11, v78, v23
	s_wait_loadcnt 0x9
	v_lshrrev_b32_e32 v27, 16, v13
	v_fma_f16 v23, v76, v23, -v29
	v_mul_f16_e32 v28, v74, v13
	ds_store_b32 v54, v8 offset:3360
	v_pack_b32_f16 v8, v9, v22
	v_fmac_f16_e32 v11, v76, v12
	v_mul_f16_e32 v9, v74, v27
	s_wait_loadcnt 0x8
	v_lshrrev_b32_e32 v22, 16, v14
	v_fma_f16 v12, v72, v27, -v28
	v_mul_f16_e32 v27, v73, v14
	ds_store_2addr_b32 v54, v21, v8 offset1:112
	v_pack_b32_f16 v8, v11, v23
	v_fmac_f16_e32 v9, v72, v13
	v_mul_f16_e32 v11, v73, v22
	s_wait_loadcnt 0x7
	v_lshrrev_b32_e32 v13, 16, v15
	v_fma_f16 v21, v71, v22, -v27
	v_mul_f16_e32 v22, v70, v15
	v_pack_b32_f16 v9, v9, v12
	v_fmac_f16_e32 v11, v71, v14
	v_mul_f16_e32 v12, v70, v13
	s_wait_loadcnt 0x6
	v_lshrrev_b32_e32 v14, 16, v16
	v_fma_f16 v13, v68, v13, -v22
	v_mul_f16_e32 v23, v69, v16
	v_pack_b32_f16 v11, v11, v21
	v_fmac_f16_e32 v12, v68, v15
	s_wait_loadcnt 0x5
	v_lshrrev_b32_e32 v21, 16, v17
	v_mul_f16_e32 v15, v69, v14
	v_mul_f16_e32 v22, v66, v17
	ds_store_2addr_b32 v6, v8, v11 offset0:56 offset1:168
	v_pack_b32_f16 v8, v12, v13
	v_mul_f16_e32 v11, v66, v21
	v_fma_f16 v14, v67, v14, -v23
	v_fmac_f16_e32 v15, v67, v16
	v_fma_f16 v12, v65, v21, -v22
	ds_store_2addr_b32 v4, v9, v8 offset0:96 offset1:208
	v_fmac_f16_e32 v11, v65, v17
	s_wait_loadcnt 0x3
	v_lshrrev_b32_e32 v9, 16, v19
	v_lshrrev_b32_e32 v13, 16, v18
	v_mul_f16_e32 v16, v64, v18
	v_pack_b32_f16 v8, v15, v14
	v_mul_f16_e32 v15, v62, v19
	v_pack_b32_f16 v11, v11, v12
	v_mul_f16_e32 v12, v62, v9
	v_mul_f16_e32 v14, v64, v13
	v_fma_f16 v13, v63, v13, -v16
	s_wait_loadcnt 0x2
	v_lshrrev_b32_e32 v16, 16, v20
	v_fma_f16 v9, v61, v9, -v15
	v_mul_f16_e32 v15, v60, v20
	s_wait_loadcnt 0x1
	v_lshrrev_b32_e32 v17, 16, v2
	v_fmac_f16_e32 v12, v61, v19
	s_wait_loadcnt 0x0
	v_lshrrev_b32_e32 v19, 16, v3
	v_fmac_f16_e32 v14, v63, v18
	v_mul_f16_e32 v18, v60, v16
	v_fma_f16 v15, v59, v16, -v15
	v_mul_f16_e32 v16, v58, v2
	v_mul_f16_e32 v21, v58, v17
	;; [unrolled: 1-line block ×4, first 2 shown]
	v_fmac_f16_e32 v18, v59, v20
	v_fma_f16 v16, v57, v17, -v16
	v_fmac_f16_e32 v21, v57, v2
	v_fma_f16 v2, v55, v19, -v22
	v_fmac_f16_e32 v23, v55, v3
	v_pack_b32_f16 v3, v14, v13
	v_pack_b32_f16 v9, v12, v9
	v_add_nc_u32_e32 v12, 0x1400, v54
	v_pack_b32_f16 v14, v21, v16
	v_pack_b32_f16 v13, v18, v15
	;; [unrolled: 1-line block ×3, first 2 shown]
	ds_store_2addr_b32 v10, v8, v3 offset0:24 offset1:136
	ds_store_2addr_b32 v5, v11, v9 offset0:64 offset1:176
	ds_store_b32 v54, v14 offset:2688
	ds_store_2addr_b32 v12, v13, v2 offset0:120 offset1:232
	s_and_saveexec_b32 s12, vcc_lo
	s_cbranch_execz .LBB0_3
; %bb.2:
	v_add_co_u32 v0, s2, v0, s2
	s_wait_alu 0xf1ff
	v_add_co_ci_u32_e64 v1, s2, s3, v1, s2
	s_delay_alu instid0(VALU_DEP_2) | instskip(SKIP_1) | instid1(VALU_DEP_2)
	v_add_co_u32 v2, s2, v0, s10
	s_wait_alu 0xf1ff
	v_add_co_ci_u32_e64 v3, s2, s11, v1, s2
	s_clause 0x1
	global_load_b32 v7, v[24:25], off offset:3136
	global_load_b32 v8, v[24:25], off offset:6496
	global_load_b32 v0, v[0:1], off
	global_load_b32 v1, v[2:3], off
	s_wait_loadcnt 0x3
	v_lshrrev_b32_e32 v2, 16, v7
	s_wait_loadcnt 0x2
	v_lshrrev_b32_e32 v3, 16, v8
	;; [unrolled: 2-line block ×4, first 2 shown]
	v_mul_f16_e32 v13, v2, v0
	s_delay_alu instid0(VALU_DEP_3) | instskip(NEXT) | instid1(VALU_DEP_3)
	v_mul_f16_e32 v2, v2, v9
	v_mul_f16_e32 v14, v3, v11
	;; [unrolled: 1-line block ×3, first 2 shown]
	s_delay_alu instid0(VALU_DEP_4) | instskip(NEXT) | instid1(VALU_DEP_4)
	v_fma_f16 v9, v7, v9, -v13
	v_fmac_f16_e32 v2, v7, v0
	s_delay_alu instid0(VALU_DEP_4) | instskip(NEXT) | instid1(VALU_DEP_4)
	v_fmac_f16_e32 v14, v8, v1
	v_fma_f16 v0, v8, v11, -v3
	s_delay_alu instid0(VALU_DEP_3) | instskip(NEXT) | instid1(VALU_DEP_2)
	v_pack_b32_f16 v1, v2, v9
	v_pack_b32_f16 v0, v14, v0
	ds_store_b32 v54, v1 offset:3136
	ds_store_b32 v54, v0 offset:6496
.LBB0_3:
	s_wait_alu 0xfffe
	s_or_b32 exec_lo, exec_lo, s12
	v_add_nc_u32_e32 v0, 0xa00, v54
	global_wb scope:SCOPE_SE
	s_wait_dscnt 0x0
	s_wait_kmcnt 0x0
	s_barrier_signal -1
	s_barrier_wait -1
	global_inv scope:SCOPE_SE
	ds_load_2addr_b32 v[8:9], v54 offset1:112
	ds_load_2addr_b32 v[2:3], v0 offset0:32 offset1:200
	ds_load_2addr_b32 v[0:1], v6 offset0:56 offset1:168
	;; [unrolled: 1-line block ×6, first 2 shown]
                                        ; implicit-def: $vgpr14
                                        ; implicit-def: $vgpr15
	s_and_saveexec_b32 s2, vcc_lo
	s_cbranch_execz .LBB0_5
; %bb.4:
	ds_load_b32 v14, v54 offset:3136
	ds_load_b32 v15, v54 offset:6496
.LBB0_5:
	s_wait_alu 0xfffe
	s_or_b32 exec_lo, exec_lo, s2
	s_load_b64 s[2:3], s[0:1], 0x8
	v_add_co_u32 v44, s0, 0x70, v75
	s_wait_dscnt 0x5
	v_pk_add_f16 v20, v8, v3 neg_lo:[0,1] neg_hi:[0,1]
	s_wait_dscnt 0x4
	v_pk_add_f16 v22, v9, v0 neg_lo:[0,1] neg_hi:[0,1]
	v_lshlrev_b32_e32 v18, 1, v75
	s_wait_dscnt 0x3
	v_pk_add_f16 v28, v6, v1 neg_lo:[0,1] neg_hi:[0,1]
	s_wait_dscnt 0x0
	v_pk_add_f16 v1, v14, v15 neg_lo:[0,1] neg_hi:[0,1]
	v_pk_add_f16 v15, v4, v11 neg_lo:[0,1] neg_hi:[0,1]
	s_wait_alu 0xf1ff
	v_add_co_ci_u32_e64 v16, null, 0, 0, s0
	v_add_co_u32 v43, null, 0xe0, v75
	v_add_co_u32 v17, null, 0x150, v75
	;; [unrolled: 1-line block ×4, first 2 shown]
	v_lshlrev_b32_e32 v88, 3, v75
	v_pk_fma_f16 v19, v8, 2.0, v20 op_sel_hi:[1,0,1] neg_lo:[0,0,1] neg_hi:[0,0,1]
	v_lshlrev_b32_e32 v90, 3, v44
	v_pk_fma_f16 v21, v9, 2.0, v22 op_sel_hi:[1,0,1] neg_lo:[0,0,1] neg_hi:[0,0,1]
	v_pk_add_f16 v10, v7, v10 neg_lo:[0,1] neg_hi:[0,1]
	v_pk_add_f16 v12, v5, v12 neg_lo:[0,1] neg_hi:[0,1]
	;; [unrolled: 1-line block ×3, first 2 shown]
	v_pk_fma_f16 v0, v14, 2.0, v1 op_sel_hi:[1,0,1] neg_lo:[0,0,1] neg_hi:[0,0,1]
	v_pk_fma_f16 v14, v4, 2.0, v15 op_sel_hi:[1,0,1] neg_lo:[0,0,1] neg_hi:[0,0,1]
	v_lshlrev_b32_e32 v4, 2, v18
	global_wb scope:SCOPE_SE
	s_wait_kmcnt 0x0
	s_barrier_signal -1
	s_barrier_wait -1
	global_inv scope:SCOPE_SE
	ds_store_b64 v88, v[19:20]
	v_lshlrev_b32_e32 v20, 1, v44
	ds_store_b64 v90, v[21:22]
	v_lshlrev_b32_e32 v19, 1, v43
	v_lshlrev_b32_e32 v87, 3, v43
	v_pk_fma_f16 v27, v6, 2.0, v28 op_sel_hi:[1,0,1] neg_lo:[0,0,1] neg_hi:[0,0,1]
	v_lshlrev_b32_e32 v21, 1, v17
	v_lshlrev_b32_e32 v89, 3, v17
	;; [unrolled: 1-line block ×4, first 2 shown]
	v_add_nc_u32_e32 v102, 0x460, v18
	v_add_nc_u32_e32 v103, 0x540, v18
	v_lshlrev_b32_e32 v92, 3, v23
	v_pk_fma_f16 v9, v7, 2.0, v10 op_sel_hi:[1,0,1] neg_lo:[0,0,1] neg_hi:[0,0,1]
	v_pk_fma_f16 v11, v5, 2.0, v12 op_sel_hi:[1,0,1] neg_lo:[0,0,1] neg_hi:[0,0,1]
	;; [unrolled: 1-line block ×3, first 2 shown]
	v_add_nc_u32_e32 v4, 0x1000, v4
	ds_store_b64 v87, v[27:28]
	ds_store_b64 v89, v[9:10]
	;; [unrolled: 1-line block ×3, first 2 shown]
	ds_store_2addr_b64 v4, v[11:12], v[2:3] offset0:48 offset1:160
	s_and_saveexec_b32 s0, vcc_lo
	s_cbranch_execz .LBB0_7
; %bb.6:
	ds_store_b64 v92, v[0:1]
.LBB0_7:
	s_wait_alu 0xfffe
	s_or_b32 exec_lo, exec_lo, s0
	v_add_nc_u32_e32 v6, 0xe00, v54
	v_add_nc_u32_e32 v2, 0xa00, v54
	;; [unrolled: 1-line block ×6, first 2 shown]
	global_wb scope:SCOPE_SE
	s_wait_dscnt 0x0
	s_barrier_signal -1
	s_barrier_wait -1
	global_inv scope:SCOPE_SE
	ds_load_2addr_b32 v[4:5], v54 offset1:112
	ds_load_2addr_b32 v[2:3], v2 offset0:32 offset1:200
	ds_load_2addr_b32 v[14:15], v6 offset0:56 offset1:168
	;; [unrolled: 1-line block ×6, first 2 shown]
	s_and_saveexec_b32 s0, vcc_lo
	s_cbranch_execz .LBB0_9
; %bb.8:
	ds_load_b32 v0, v54 offset:3136
	ds_load_b32 v1, v54 offset:6496
.LBB0_9:
	s_wait_alu 0xfffe
	s_or_b32 exec_lo, exec_lo, s0
	v_and_b32_e32 v84, 1, v75
	v_lshlrev_b32_e32 v53, 1, v23
	s_wait_dscnt 0x4
	v_lshrrev_b32_e32 v30, 16, v14
	v_lshrrev_b32_e32 v32, 16, v15
	s_wait_dscnt 0x2
	v_lshrrev_b32_e32 v34, 16, v12
	v_lshlrev_b32_e32 v27, 2, v84
	v_and_or_b32 v23, 0xfc, v18, v84
	v_and_or_b32 v45, 0x1fc, v20, v84
	;; [unrolled: 1-line block ×4, first 2 shown]
	global_load_b32 v85, v27, s[2:3]
	v_lshrrev_b32_e32 v27, 16, v3
	v_and_or_b32 v48, 0x7fc, v22, v84
	v_and_or_b32 v49, 0x5fc, v102, v84
	;; [unrolled: 1-line block ×3, first 2 shown]
	v_lshrrev_b32_e32 v36, 16, v13
	s_wait_dscnt 0x0
	v_lshrrev_b32_e32 v38, 16, v10
	v_lshrrev_b32_e32 v40, 16, v11
	;; [unrolled: 1-line block ×3, first 2 shown]
	v_lshlrev_b32_e32 v98, 2, v23
	v_lshlrev_b32_e32 v99, 2, v45
	;; [unrolled: 1-line block ×7, first 2 shown]
	v_lshrrev_b32_e32 v28, 16, v4
	v_lshrrev_b32_e32 v29, 16, v5
	;; [unrolled: 1-line block ×8, first 2 shown]
	global_wb scope:SCOPE_SE
	s_wait_loadcnt 0x0
	s_barrier_signal -1
	s_barrier_wait -1
	global_inv scope:SCOPE_SE
	v_lshrrev_b32_e32 v104, 16, v85
	s_delay_alu instid0(VALU_DEP_1)
	v_mul_f16_e32 v23, v27, v104
	v_mul_f16_e32 v45, v3, v104
	;; [unrolled: 1-line block ×16, first 2 shown]
	v_fma_f16 v3, v3, v85, -v23
	v_fmac_f16_e32 v45, v27, v85
	v_fma_f16 v14, v14, v85, -v46
	v_fmac_f16_e32 v47, v30, v85
	;; [unrolled: 2-line block ×8, first 2 shown]
	v_sub_f16_e32 v3, v4, v3
	v_sub_f16_e32 v30, v28, v45
	;; [unrolled: 1-line block ×16, first 2 shown]
	v_fma_f16 v1, v4, 2.0, -v3
	v_fma_f16 v4, v28, 2.0, -v30
	v_fma_f16 v5, v5, 2.0, -v32
	v_fma_f16 v28, v29, 2.0, -v34
	v_fma_f16 v8, v8, 2.0, -v36
	v_fma_f16 v29, v31, 2.0, -v38
	v_fma_f16 v9, v9, 2.0, -v12
	v_fma_f16 v31, v33, 2.0, -v40
	v_fma_f16 v6, v6, 2.0, -v13
	v_fma_f16 v33, v35, 2.0, -v41
	v_fma_f16 v7, v7, 2.0, -v10
	v_fma_f16 v35, v37, 2.0, -v45
	v_fma_f16 v2, v2, 2.0, -v11
	v_fma_f16 v37, v39, 2.0, -v46
	v_fma_f16 v14, v0, 2.0, -v23
	v_fma_f16 v15, v42, 2.0, -v27
	v_pack_b32_f16 v0, v3, v30
	v_pack_b32_f16 v1, v1, v4
	;; [unrolled: 1-line block ×14, first 2 shown]
	ds_store_2addr_b32 v98, v1, v0 offset1:2
	ds_store_2addr_b32 v99, v4, v3 offset1:2
	;; [unrolled: 1-line block ×7, first 2 shown]
	s_and_saveexec_b32 s0, vcc_lo
	s_cbranch_execz .LBB0_11
; %bb.10:
	v_and_or_b32 v0, 0x6fc, v53, v84
	v_perm_b32 v1, v15, v14, 0x5040100
	v_perm_b32 v2, v27, v23, 0x5040100
	s_delay_alu instid0(VALU_DEP_3)
	v_lshlrev_b32_e32 v0, 2, v0
	ds_store_2addr_b32 v0, v1, v2 offset1:2
.LBB0_11:
	s_wait_alu 0xfffe
	s_or_b32 exec_lo, exec_lo, s0
	v_add_nc_u32_e32 v4, 0xe00, v54
	v_add_nc_u32_e32 v0, 0xa00, v54
	;; [unrolled: 1-line block ×6, first 2 shown]
	global_wb scope:SCOPE_SE
	s_wait_dscnt 0x0
	s_barrier_signal -1
	s_barrier_wait -1
	global_inv scope:SCOPE_SE
	ds_load_2addr_b32 v[2:3], v54 offset1:112
	ds_load_2addr_b32 v[0:1], v0 offset0:32 offset1:200
	ds_load_2addr_b32 v[12:13], v4 offset0:56 offset1:168
	;; [unrolled: 1-line block ×6, first 2 shown]
	s_and_saveexec_b32 s0, vcc_lo
	s_cbranch_execz .LBB0_13
; %bb.12:
	ds_load_b32 v14, v54 offset:3136
	ds_load_b32 v23, v54 offset:6496
	s_wait_dscnt 0x1
	v_lshrrev_b32_e32 v15, 16, v14
	s_wait_dscnt 0x0
	v_lshrrev_b32_e32 v27, 16, v23
.LBB0_13:
	s_wait_alu 0xfffe
	s_or_b32 exec_lo, exec_lo, s0
	v_and_b32_e32 v86, 3, v75
	s_wait_dscnt 0x5
	v_lshrrev_b32_e32 v29, 16, v1
	s_wait_dscnt 0x4
	v_lshrrev_b32_e32 v31, 16, v12
	v_lshrrev_b32_e32 v33, 16, v13
	s_wait_dscnt 0x2
	v_lshrrev_b32_e32 v35, 16, v10
	v_lshlrev_b32_e32 v28, 2, v86
	v_and_or_b32 v42, 0xf8, v18, v86
	v_and_or_b32 v45, 0x1f8, v20, v86
	;; [unrolled: 1-line block ×4, first 2 shown]
	global_load_b32 v100, v28, s[2:3] offset:8
	v_and_or_b32 v48, 0x7f8, v22, v86
	v_and_or_b32 v49, 0x5f8, v102, v86
	;; [unrolled: 1-line block ×3, first 2 shown]
	v_lshrrev_b32_e32 v37, 16, v11
	s_wait_dscnt 0x0
	v_lshrrev_b32_e32 v39, 16, v8
	v_lshrrev_b32_e32 v41, 16, v9
	v_lshlrev_b32_e32 v110, 2, v42
	v_lshlrev_b32_e32 v111, 2, v45
	;; [unrolled: 1-line block ×7, first 2 shown]
	v_lshrrev_b32_e32 v28, 16, v2
	v_lshrrev_b32_e32 v30, 16, v3
	;; [unrolled: 1-line block ×7, first 2 shown]
	global_wb scope:SCOPE_SE
	s_wait_loadcnt 0x0
	s_barrier_signal -1
	s_barrier_wait -1
	global_inv scope:SCOPE_SE
	v_lshrrev_b32_e32 v113, 16, v100
	s_delay_alu instid0(VALU_DEP_1)
	v_mul_f16_e32 v42, v29, v113
	v_mul_f16_e32 v45, v1, v113
	v_mul_f16_e32 v46, v31, v113
	v_mul_f16_e32 v47, v12, v113
	v_mul_f16_e32 v48, v33, v113
	v_mul_f16_e32 v49, v13, v113
	v_mul_f16_e32 v50, v35, v113
	v_mul_f16_e32 v51, v10, v113
	v_mul_f16_e32 v52, v37, v113
	v_mul_f16_e32 v101, v11, v113
	v_mul_f16_e32 v112, v39, v113
	v_mul_f16_e32 v114, v8, v113
	v_mul_f16_e32 v115, v41, v113
	v_mul_f16_e32 v116, v9, v113
	v_mul_f16_e32 v117, v27, v113
	v_mul_f16_e32 v118, v23, v113
	v_fma_f16 v1, v1, v100, -v42
	v_fmac_f16_e32 v45, v29, v100
	v_fma_f16 v12, v12, v100, -v46
	v_fmac_f16_e32 v47, v31, v100
	;; [unrolled: 2-line block ×8, first 2 shown]
	v_sub_f16_e32 v1, v2, v1
	v_sub_f16_e32 v29, v28, v45
	;; [unrolled: 1-line block ×16, first 2 shown]
	v_fma_f16 v2, v2, 2.0, -v1
	v_fma_f16 v28, v28, 2.0, -v29
	;; [unrolled: 1-line block ×16, first 2 shown]
	v_pack_b32_f16 v1, v1, v29
	v_pack_b32_f16 v2, v2, v28
	;; [unrolled: 1-line block ×14, first 2 shown]
	ds_store_2addr_b32 v110, v2, v1 offset1:4
	ds_store_2addr_b32 v111, v3, v12 offset1:4
	;; [unrolled: 1-line block ×7, first 2 shown]
	s_and_saveexec_b32 s0, vcc_lo
	s_cbranch_execz .LBB0_15
; %bb.14:
	v_and_or_b32 v0, 0x6f8, v53, v86
	v_perm_b32 v1, v15, v14, 0x5040100
	v_perm_b32 v2, v27, v23, 0x5040100
	s_delay_alu instid0(VALU_DEP_3)
	v_lshlrev_b32_e32 v0, 2, v0
	ds_store_2addr_b32 v0, v1, v2 offset1:4
.LBB0_15:
	s_wait_alu 0xfffe
	s_or_b32 exec_lo, exec_lo, s0
	v_add_nc_u32_e32 v4, 0xe00, v54
	v_add_nc_u32_e32 v0, 0xa00, v54
	v_add_nc_u32_e32 v5, 0x200, v54
	v_add_nc_u32_e32 v8, 0x1200, v54
	v_add_nc_u32_e32 v9, 0x600, v54
	v_add_nc_u32_e32 v28, 0x1400, v54
	global_wb scope:SCOPE_SE
	s_wait_dscnt 0x0
	s_barrier_signal -1
	s_barrier_wait -1
	global_inv scope:SCOPE_SE
	ds_load_2addr_b32 v[2:3], v54 offset1:112
	ds_load_2addr_b32 v[0:1], v0 offset0:32 offset1:200
	ds_load_2addr_b32 v[12:13], v4 offset0:56 offset1:168
	;; [unrolled: 1-line block ×6, first 2 shown]
	s_and_saveexec_b32 s0, vcc_lo
	s_cbranch_execz .LBB0_17
; %bb.16:
	ds_load_b32 v14, v54 offset:3136
	ds_load_b32 v23, v54 offset:6496
	s_wait_dscnt 0x1
	v_lshrrev_b32_e32 v15, 16, v14
	s_wait_dscnt 0x0
	v_lshrrev_b32_e32 v27, 16, v23
.LBB0_17:
	s_wait_alu 0xfffe
	s_or_b32 exec_lo, exec_lo, s0
	v_and_b32_e32 v101, 7, v75
	s_wait_dscnt 0x5
	v_lshrrev_b32_e32 v29, 16, v1
	s_wait_dscnt 0x4
	v_lshrrev_b32_e32 v31, 16, v12
	v_lshrrev_b32_e32 v33, 16, v13
	s_wait_dscnt 0x2
	v_lshrrev_b32_e32 v35, 16, v10
	v_lshlrev_b32_e32 v28, 2, v101
	v_and_or_b32 v18, 0xf0, v18, v101
	v_and_or_b32 v19, 0x3f0, v19, v101
	;; [unrolled: 1-line block ×4, first 2 shown]
	global_load_b32 v112, v28, s[2:3] offset:24
	v_and_or_b32 v22, 0x7f0, v22, v101
	v_and_or_b32 v42, 0x5f0, v102, v101
	;; [unrolled: 1-line block ×3, first 2 shown]
	v_lshrrev_b32_e32 v37, 16, v11
	s_wait_dscnt 0x0
	v_lshrrev_b32_e32 v39, 16, v8
	v_lshrrev_b32_e32 v41, 16, v9
	v_lshlrev_b32_e32 v119, 2, v18
	v_lshlrev_b32_e32 v114, 2, v19
	;; [unrolled: 1-line block ×7, first 2 shown]
	v_lshrrev_b32_e32 v28, 16, v2
	v_lshrrev_b32_e32 v30, 16, v3
	;; [unrolled: 1-line block ×7, first 2 shown]
	global_wb scope:SCOPE_SE
	s_wait_loadcnt 0x0
	s_barrier_signal -1
	s_barrier_wait -1
	global_inv scope:SCOPE_SE
	v_lshrrev_b32_e32 v124, 16, v112
	s_delay_alu instid0(VALU_DEP_1)
	v_mul_f16_e32 v18, v29, v124
	v_mul_f16_e32 v19, v1, v124
	v_mul_f16_e32 v20, v31, v124
	v_mul_f16_e32 v21, v12, v124
	v_mul_f16_e32 v22, v33, v124
	v_mul_f16_e32 v42, v13, v124
	v_mul_f16_e32 v45, v35, v124
	v_mul_f16_e32 v46, v10, v124
	v_mul_f16_e32 v47, v37, v124
	v_mul_f16_e32 v48, v11, v124
	v_mul_f16_e32 v49, v39, v124
	v_mul_f16_e32 v50, v8, v124
	v_mul_f16_e32 v51, v41, v124
	v_mul_f16_e32 v52, v9, v124
	v_mul_f16_e32 v121, v27, v124
	v_fma_f16 v1, v1, v112, -v18
	v_fmac_f16_e32 v19, v29, v112
	v_fma_f16 v12, v12, v112, -v20
	v_fmac_f16_e32 v21, v31, v112
	;; [unrolled: 2-line block ×4, first 2 shown]
	v_mul_f16_e32 v122, v23, v124
	v_fma_f16 v11, v11, v112, -v47
	v_fmac_f16_e32 v48, v37, v112
	v_fma_f16 v8, v8, v112, -v49
	v_fmac_f16_e32 v50, v39, v112
	v_fma_f16 v9, v9, v112, -v51
	v_fmac_f16_e32 v52, v41, v112
	v_fma_f16 v18, v23, v112, -v121
	v_sub_f16_e32 v1, v2, v1
	v_sub_f16_e32 v19, v28, v19
	;; [unrolled: 1-line block ×8, first 2 shown]
	v_fmac_f16_e32 v122, v27, v112
	v_sub_f16_e32 v11, v4, v11
	v_sub_f16_e32 v27, v36, v48
	;; [unrolled: 1-line block ×7, first 2 shown]
	v_fma_f16 v2, v2, 2.0, -v1
	v_fma_f16 v18, v28, 2.0, -v19
	;; [unrolled: 1-line block ×10, first 2 shown]
	v_sub_f16_e32 v45, v15, v122
	v_fma_f16 v5, v5, 2.0, -v8
	v_fma_f16 v34, v38, 2.0, -v29
	;; [unrolled: 1-line block ×4, first 2 shown]
	v_pack_b32_f16 v1, v1, v19
	v_pack_b32_f16 v2, v2, v18
	;; [unrolled: 1-line block ×14, first 2 shown]
	ds_store_2addr_b32 v119, v2, v1 offset1:8
	ds_store_2addr_b32 v120, v3, v19 offset1:8
	ds_store_2addr_b32 v114, v6, v13 offset1:8
	ds_store_2addr_b32 v115, v7, v10 offset1:8
	ds_store_2addr_b32 v116, v4, v11 offset1:8
	ds_store_2addr_b32 v117, v5, v8 offset1:8
	ds_store_2addr_b32 v118, v0, v9 offset1:8
	s_and_saveexec_b32 s0, vcc_lo
	s_cbranch_execz .LBB0_19
; %bb.18:
	v_fma_f16 v0, v14, 2.0, -v12
	v_and_or_b32 v1, 0x6f0, v53, v101
	v_fma_f16 v2, v15, 2.0, -v45
	s_delay_alu instid0(VALU_DEP_2) | instskip(NEXT) | instid1(VALU_DEP_2)
	v_lshlrev_b32_e32 v1, 2, v1
	v_pack_b32_f16 v0, v0, v2
	v_perm_b32 v2, v45, v12, 0x5040100
	ds_store_2addr_b32 v1, v0, v2 offset1:8
.LBB0_19:
	s_wait_alu 0xfffe
	s_or_b32 exec_lo, exec_lo, s0
	v_and_b32_e32 v15, 15, v75
	global_wb scope:SCOPE_SE
	s_wait_dscnt 0x0
	s_barrier_signal -1
	s_barrier_wait -1
	global_inv scope:SCOPE_SE
	v_lshlrev_b32_e32 v0, 3, v15
	v_add_nc_u32_e32 v18, 0x600, v54
	v_add_nc_u32_e32 v2, 0x1000, v54
	;; [unrolled: 1-line block ×4, first 2 shown]
	global_load_b64 v[29:30], v0, s[2:3] offset:56
	v_add_nc_u32_e32 v8, 0x1400, v54
	v_add_nc_u32_e32 v10, 0xc00, v54
	ds_load_2addr_b32 v[0:1], v54 offset1:112
	ds_load_b32 v21, v54 offset:6272
	ds_load_2addr_b32 v[13:14], v18 offset0:64 offset1:176
	ds_load_2addr_b32 v[2:3], v2 offset0:96 offset1:208
	;; [unrolled: 1-line block ×6, first 2 shown]
	v_lshrrev_b32_e32 v22, 4, v75
	v_lshrrev_b32_e32 v23, 4, v44
	;; [unrolled: 1-line block ×5, first 2 shown]
	v_mul_u32_u24_e32 v22, 48, v22
	v_mul_u32_u24_e32 v23, 48, v23
	;; [unrolled: 1-line block ×5, first 2 shown]
	v_or_b32_e32 v22, v22, v15
	v_or_b32_e32 v23, v23, v15
	;; [unrolled: 1-line block ×5, first 2 shown]
	v_lshlrev_b32_e32 v126, 2, v22
	v_lshlrev_b32_e32 v125, 2, v23
	s_wait_dscnt 0x5
	v_lshrrev_b32_e32 v22, 16, v14
	s_wait_dscnt 0x4
	v_lshrrev_b32_e32 v23, 16, v2
	v_lshlrev_b32_e32 v123, 2, v27
	s_wait_dscnt 0x3
	v_lshrrev_b32_e32 v27, 16, v4
	v_lshrrev_b32_e32 v33, 16, v3
	v_lshlrev_b32_e32 v122, 2, v17
	v_lshrrev_b32_e32 v17, 16, v21
	v_lshrrev_b32_e32 v35, 16, v5
	s_wait_dscnt 0x1
	v_lshrrev_b32_e32 v36, 16, v8
	s_wait_dscnt 0x0
	v_lshrrev_b32_e32 v40, 16, v11
	v_lshrrev_b32_e32 v38, 16, v10
	;; [unrolled: 1-line block ×3, first 2 shown]
	v_lshlrev_b32_e32 v121, 2, v15
	v_lshrrev_b32_e32 v15, 16, v0
	v_lshrrev_b32_e32 v16, 16, v1
	;; [unrolled: 1-line block ×5, first 2 shown]
	v_add_nc_u32_e32 v28, 0xe00, v54
	v_add_nc_u32_e32 v31, 0x1200, v54
	;; [unrolled: 1-line block ×3, first 2 shown]
	global_wb scope:SCOPE_SE
	s_wait_loadcnt 0x0
	s_barrier_signal -1
	s_barrier_wait -1
	global_inv scope:SCOPE_SE
	v_cmp_gt_u16_e64 s0, 16, v75
	v_lshrrev_b32_e32 v129, 16, v29
	v_lshrrev_b32_e32 v128, 16, v30
	s_delay_alu instid0(VALU_DEP_2) | instskip(SKIP_1) | instid1(VALU_DEP_3)
	v_mul_f16_e64 v41, v22, v129
	v_mul_f16_e64 v42, v14, v129
	;; [unrolled: 1-line block ×20, first 2 shown]
	v_fma_f16 v14, v14, v29, -v41
	v_fmac_f16_e32 v42, v22, v29
	v_fma_f16 v2, v2, v30, -v47
	v_fmac_f16_e32 v48, v23, v30
	;; [unrolled: 2-line block ×4, first 2 shown]
	v_fma_f16 v5, v5, v29, -v127
	v_fmac_f16_e64 v130, v35, v29
	v_fma_f16 v8, v8, v30, -v131
	v_fmac_f16_e64 v132, v36, v30
	v_fmac_f16_e64 v134, v38, v29
	v_fmac_f16_e64 v136, v39, v30
	v_fma_f16 v11, v11, v29, -v137
	v_fmac_f16_e64 v138, v40, v29
	v_fma_f16 v21, v21, v30, -v139
	v_fmac_f16_e64 v140, v17, v30
	v_fma_f16 v10, v10, v29, -v133
	v_fma_f16 v9, v9, v30, -v135
	v_add_f16_e32 v22, v14, v2
	v_add_f16_e32 v33, v42, v48
	;; [unrolled: 1-line block ×4, first 2 shown]
	v_sub_f16_e32 v23, v42, v48
	v_add_f16_e32 v27, v15, v42
	v_sub_f16_e32 v38, v50, v52
	v_add_f16_e32 v39, v16, v50
	v_add_f16_e32 v42, v5, v8
	v_add_f16_e64 v50, v130, v132
	v_add_f16_e64 v133, v134, v136
	;; [unrolled: 1-line block ×3, first 2 shown]
	v_sub_f16_e64 v137, v138, v140
	v_add_f16_e64 v139, v46, v138
	v_add_f16_e64 v138, v138, v140
	v_add_f16_e32 v17, v0, v14
	v_sub_f16_e32 v14, v14, v2
	v_add_f16_e32 v127, v10, v9
	v_fma_f16 v0, -0.5, v22, v0
	v_fmac_f16_e32 v15, -0.5, v33
	v_add_f16_e32 v35, v1, v4
	v_sub_f16_e32 v4, v4, v3
	v_fmac_f16_e32 v1, -0.5, v36
	v_fmac_f16_e32 v16, -0.5, v40
	v_add_f16_e32 v41, v6, v5
	v_sub_f16_e64 v47, v130, v132
	v_add_f16_e64 v49, v34, v130
	v_sub_f16_e32 v5, v5, v8
	v_add_f16_e32 v51, v7, v10
	v_sub_f16_e64 v130, v134, v136
	v_add_f16_e64 v131, v37, v134
	v_sub_f16_e32 v10, v10, v9
	v_add_f16_e64 v134, v13, v11
	v_sub_f16_e32 v11, v11, v21
	v_fma_f16 v6, -0.5, v42, v6
	v_fmac_f16_e32 v34, -0.5, v50
	v_fmac_f16_e64 v37, -0.5, v133
	v_fmac_f16_e64 v13, -0.5, v135
	;; [unrolled: 1-line block ×3, first 2 shown]
	v_add_f16_e32 v2, v17, v2
	v_add_f16_e32 v17, v27, v48
	v_fmac_f16_e32 v7, -0.5, v127
	v_fmamk_f16 v36, v23, 0x3aee, v0
	v_fmac_f16_e32 v0, 0xbaee, v23
	v_fmamk_f16 v23, v14, 0xbaee, v15
	v_fmac_f16_e32 v15, 0x3aee, v14
	v_add_f16_e32 v3, v35, v3
	v_add_f16_e32 v22, v39, v52
	v_fmamk_f16 v14, v38, 0x3aee, v1
	v_fmac_f16_e32 v1, 0xbaee, v38
	v_fmamk_f16 v38, v4, 0xbaee, v16
	v_fmac_f16_e32 v16, 0x3aee, v4
	v_add_f16_e32 v8, v41, v8
	v_add_f16_e64 v27, v49, v132
	v_fmamk_f16 v4, v47, 0x3aee, v6
	v_fmamk_f16 v39, v5, 0xbaee, v34
	;; [unrolled: 1-line block ×3, first 2 shown]
	v_fmac_f16_e32 v37, 0x3aee, v10
	v_fma_f16 v10, 0x3aee, v137, v13
	v_fmac_f16_e64 v13, 0xbaee, v137
	v_fmamk_f16 v41, v11, 0xbaee, v46
	v_fmac_f16_e32 v46, 0x3aee, v11
	v_add_f16_e32 v9, v51, v9
	v_add_f16_e64 v33, v131, v136
	v_add_f16_e64 v21, v134, v21
	v_add_f16_e64 v35, v139, v140
	v_fmac_f16_e32 v6, 0xbaee, v47
	v_fmac_f16_e32 v34, 0x3aee, v5
	v_fma_f16 v5, 0x3aee, v130, v7
	v_fmac_f16_e64 v7, 0xbaee, v130
	v_pack_b32_f16 v2, v2, v17
	v_pack_b32_f16 v17, v36, v23
	;; [unrolled: 1-line block ×15, first 2 shown]
	ds_store_2addr_b32 v126, v2, v17 offset1:16
	ds_store_b32 v126, v0 offset:128
	ds_store_2addr_b32 v125, v3, v14 offset1:16
	ds_store_b32 v125, v1 offset:128
	ds_store_2addr_b32 v123, v8, v4 offset1:16
	ds_store_b32 v123, v6 offset:128
	ds_store_2addr_b32 v122, v9, v5 offset1:16
	ds_store_b32 v122, v7 offset:128
	ds_store_2addr_b32 v121, v11, v10 offset1:16
	ds_store_b32 v121, v15 offset:128
	global_wb scope:SCOPE_SE
	s_wait_dscnt 0x0
	s_barrier_signal -1
	s_barrier_wait -1
	global_inv scope:SCOPE_SE
	ds_load_2addr_b32 v[14:15], v54 offset1:112
	ds_load_2addr_b32 v[37:38], v20 offset0:112 offset1:224
	ds_load_2addr_b32 v[35:36], v18 offset0:96 offset1:208
	;; [unrolled: 1-line block ×6, first 2 shown]
                                        ; implicit-def: $vgpr42
                                        ; implicit-def: $vgpr49
                                        ; implicit-def: $vgpr40
                                        ; implicit-def: $vgpr50
                                        ; implicit-def: $vgpr47
                                        ; implicit-def: $vgpr48
                                        ; implicit-def: $vgpr51
                                        ; implicit-def: $vgpr52
	s_and_saveexec_b32 s1, s0
	s_cbranch_execz .LBB0_21
; %bb.20:
	v_add_nc_u32_e32 v0, 0x380, v54
	v_add_nc_u32_e32 v1, 0xb00, v54
	v_add_nc_u32_e32 v2, 0x1280, v54
	ds_load_b32 v47, v54 offset:6656
	ds_load_2addr_b32 v[11:12], v0 offset1:240
	ds_load_2addr_b32 v[41:42], v1 offset1:240
	;; [unrolled: 1-line block ×3, first 2 shown]
	s_wait_dscnt 0x3
	v_lshrrev_b32_e32 v48, 16, v47
	s_wait_dscnt 0x2
	v_mov_b32_e32 v13, v11
	v_lshrrev_b32_e32 v46, 16, v11
	v_lshrrev_b32_e32 v45, 16, v12
	s_wait_dscnt 0x1
	v_lshrrev_b32_e32 v52, 16, v41
	v_lshrrev_b32_e32 v49, 16, v42
	s_wait_dscnt 0x0
	v_lshrrev_b32_e32 v51, 16, v39
	v_lshrrev_b32_e32 v50, 16, v40
.LBB0_21:
	s_wait_alu 0xfffe
	s_or_b32 exec_lo, exec_lo, s1
	v_and_b32_e32 v0, 0xff, v75
	v_and_b32_e32 v2, 0xffff, v43
	;; [unrolled: 1-line block ×3, first 2 shown]
	s_wait_dscnt 0x5
	v_lshrrev_b32_e32 v140, 16, v37
	s_wait_dscnt 0x4
	v_lshrrev_b32_e32 v141, 16, v35
	v_mul_lo_u16 v0, 0xab, v0
	s_wait_dscnt 0x1
	v_lshrrev_b32_e32 v144, 16, v18
	v_mul_lo_u16 v1, 0xab, v1
	s_wait_dscnt 0x0
	v_lshrrev_b32_e32 v145, 16, v16
	v_lshrrev_b32_e32 v142, 16, v22
	v_lshrrev_b16 v127, 13, v0
	v_mul_u32_u24_e32 v0, 0xaaab, v2
	v_lshrrev_b16 v130, 13, v1
	v_lshrrev_b32_e32 v143, 16, v20
	v_lshrrev_b32_e32 v146, 16, v38
	v_mul_lo_u16 v1, v127, 48
	v_lshrrev_b32_e32 v0, 21, v0
	v_mul_lo_u16 v2, v130, 48
	v_and_b32_e32 v127, 0xffff, v127
	v_and_b32_e32 v130, 0xffff, v130
	v_sub_nc_u16 v1, v75, v1
	v_mul_lo_u16 v0, v0, 48
	v_sub_nc_u16 v2, v44, v2
	v_mul_u32_u24_e32 v134, 0x150, v127
	v_mul_u32_u24_e32 v130, 0x150, v130
	v_and_b32_e32 v131, 0xff, v1
	v_sub_nc_u16 v132, v43, v0
	v_and_b32_e32 v133, 0xff, v2
	v_lshrrev_b32_e32 v147, 16, v36
	v_lshrrev_b32_e32 v162, 16, v19
	v_mad_co_u64_u32 v[0:1], null, v131, 24, s[2:3]
	v_mul_lo_u16 v4, v132, 24
	v_mad_co_u64_u32 v[2:3], null, v133, 24, s[2:3]
	v_lshrrev_b32_e32 v163, 16, v17
	v_lshrrev_b32_e32 v148, 16, v23
	s_delay_alu instid0(VALU_DEP_4)
	v_and_b32_e32 v27, 0xffff, v4
	s_clause 0x2
	global_load_b128 v[8:11], v[0:1], off offset:184
	global_load_b64 v[33:34], v[0:1], off offset:200
	global_load_b128 v[4:7], v[2:3], off offset:184
	v_lshrrev_b32_e32 v149, 16, v21
	v_and_b32_e32 v127, 0xffff, v132
	v_add_co_u32 v27, s1, s2, v27
	s_wait_alu 0xf1ff
	v_add_co_ci_u32_e64 v28, null, s3, 0, s1
	s_clause 0x2
	global_load_b64 v[31:32], v[2:3], off offset:200
	global_load_b128 v[0:3], v[27:28], off offset:184
	global_load_b64 v[27:28], v[27:28], off offset:200
	v_add_lshl_u32 v137, v134, v131, 2
	v_add_lshl_u32 v136, v130, v133, 2
	v_lshrrev_b32_e32 v139, 16, v14
	v_lshrrev_b32_e32 v138, 16, v15
	global_wb scope:SCOPE_SE
	s_wait_loadcnt 0x0
	s_barrier_signal -1
	s_barrier_wait -1
	global_inv scope:SCOPE_SE
	v_lshrrev_b32_e32 v161, 16, v8
	v_lshrrev_b32_e32 v160, 16, v9
	;; [unrolled: 1-line block ×18, first 2 shown]
	v_mul_f16_e64 v164, v140, v161
	v_mul_f16_e64 v165, v37, v161
	;; [unrolled: 1-line block ×36, first 2 shown]
	v_fma_f16 v37, v37, v8, -v164
	v_fmac_f16_e64 v165, v140, v8
	v_fma_f16 v35, v35, v9, -v166
	v_fmac_f16_e64 v167, v141, v9
	;; [unrolled: 2-line block ×18, first 2 shown]
	v_add_f16_e32 v47, v37, v16
	v_add_f16_e64 v48, v165, v175
	v_add_f16_e32 v49, v35, v18
	v_add_f16_e64 v50, v167, v173
	v_sub_f16_e32 v16, v37, v16
	v_sub_f16_e64 v37, v165, v175
	v_sub_f16_e32 v18, v35, v18
	v_sub_f16_e64 v35, v167, v173
	v_add_f16_e32 v51, v22, v20
	v_add_f16_e64 v52, v169, v171
	v_sub_f16_e32 v20, v20, v22
	v_sub_f16_e64 v22, v171, v169
	v_add_f16_e64 v140, v38, v17
	v_add_f16_e64 v141, v177, v187
	;; [unrolled: 1-line block ×4, first 2 shown]
	v_sub_f16_e32 v17, v38, v17
	v_sub_f16_e64 v38, v177, v187
	v_sub_f16_e32 v19, v36, v19
	v_sub_f16_e64 v36, v179, v185
	v_add_f16_e64 v144, v23, v21
	v_sub_f16_e32 v21, v21, v23
	v_sub_f16_e64 v23, v183, v181
	v_add_f16_e64 v146, v12, v45
	v_add_f16_e64 v147, v189, v199
	v_sub_f16_e32 v12, v12, v45
	v_sub_f16_e64 v45, v189, v199
	v_add_f16_e64 v148, v41, v40
	;; [unrolled: 4-line block ×3, first 2 shown]
	v_sub_f16_e32 v39, v39, v42
	v_sub_f16_e64 v42, v195, v193
	v_add_f16_e64 v164, v49, v47
	v_add_f16_e64 v165, v50, v48
	;; [unrolled: 1-line block ×3, first 2 shown]
	v_sub_f16_e64 v166, v49, v47
	v_sub_f16_e64 v167, v50, v48
	v_sub_f16_e32 v47, v47, v51
	v_sub_f16_e32 v48, v48, v52
	;; [unrolled: 1-line block ×4, first 2 shown]
	v_add_f16_e64 v168, v20, v18
	v_add_f16_e64 v169, v22, v35
	v_sub_f16_e64 v170, v20, v18
	v_sub_f16_e64 v171, v22, v35
	v_sub_f16_e32 v18, v18, v16
	v_sub_f16_e32 v35, v35, v37
	v_add_f16_e64 v172, v142, v140
	v_add_f16_e64 v173, v143, v141
	;; [unrolled: 1-line block ×3, first 2 shown]
	v_sub_f16_e64 v174, v142, v140
	v_sub_f16_e64 v140, v140, v144
	;; [unrolled: 1-line block ×3, first 2 shown]
	v_add_f16_e64 v176, v21, v19
	v_add_f16_e64 v177, v23, v36
	v_sub_f16_e64 v178, v21, v19
	v_sub_f16_e64 v179, v23, v36
	v_sub_f16_e32 v19, v19, v17
	v_sub_f16_e32 v36, v36, v38
	v_add_f16_e64 v180, v148, v146
	v_add_f16_e64 v181, v149, v147
	;; [unrolled: 1-line block ×3, first 2 shown]
	v_sub_f16_e64 v186, v39, v40
	v_sub_f16_e64 v187, v42, v41
	v_sub_f16_e32 v41, v41, v45
	v_add_f16_e64 v51, v51, v164
	v_add_f16_e64 v52, v52, v165
	v_sub_f16_e32 v20, v16, v20
	v_sub_f16_e32 v22, v37, v22
	v_sub_f16_e64 v175, v143, v141
	v_sub_f16_e64 v141, v141, v145
	;; [unrolled: 1-line block ×3, first 2 shown]
	v_add_f16_e64 v16, v168, v16
	v_add_f16_e64 v37, v169, v37
	v_mul_f16_e32 v47, 0x3a52, v47
	v_mul_f16_e32 v48, 0x3a52, v48
	v_mul_f16_e64 v164, 0x2b26, v49
	v_mul_f16_e64 v165, 0x2b26, v50
	;; [unrolled: 1-line block ×6, first 2 shown]
	v_add_f16_e64 v144, v144, v172
	v_add_f16_e64 v145, v145, v173
	v_sub_f16_e32 v21, v17, v21
	v_sub_f16_e32 v23, v38, v23
	v_sub_f16_e64 v182, v148, v146
	v_sub_f16_e64 v183, v149, v147
	;; [unrolled: 1-line block ×6, first 2 shown]
	v_add_f16_e64 v184, v39, v40
	v_sub_f16_e32 v42, v45, v42
	v_sub_f16_e32 v40, v40, v12
	v_add_f16_e64 v17, v176, v17
	v_add_f16_e64 v38, v177, v38
	v_mul_f16_e64 v140, 0x3a52, v140
	v_mul_f16_e64 v172, 0x2b26, v142
	v_mul_f16_e64 v176, 0xb846, v178
	v_mul_f16_e64 v177, 0xb846, v179
	v_mul_f16_e64 v178, 0x3b00, v19
	v_mul_f16_e64 v179, 0x3b00, v36
	v_add_f16_e64 v162, v162, v180
	v_add_f16_e64 v163, v163, v181
	;; [unrolled: 1-line block ×3, first 2 shown]
	v_mul_f16_e64 v185, 0xb846, v186
	v_mul_f16_e64 v186, 0xb846, v187
	;; [unrolled: 1-line block ×3, first 2 shown]
	v_add_f16_e32 v14, v14, v51
	v_add_f16_e64 v139, v139, v52
	v_mul_f16_e64 v141, 0x3a52, v141
	v_fmamk_f16 v49, v49, 0x2b26, v47
	v_fmamk_f16 v50, v50, 0x2b26, v48
	v_fma_f16 v164, v166, 0x39e0, -v164
	v_fma_f16 v165, v167, 0x39e0, -v165
	;; [unrolled: 1-line block ×4, first 2 shown]
	v_fma_f16 v166, 0x3574, v20, v168
	v_fma_f16 v167, 0x3574, v22, v169
	v_fma_f16 v18, v18, 0x3b00, -v168
	v_fma_f16 v35, v35, 0x3b00, -v169
	;; [unrolled: 1-line block ×4, first 2 shown]
	v_add_f16_e64 v15, v15, v144
	v_add_f16_e64 v138, v138, v145
	v_sub_f16_e32 v39, v12, v39
	v_mul_f16_e64 v173, 0x2b26, v143
	v_add_f16_e64 v180, v184, v12
	v_mul_f16_e64 v146, 0x3a52, v146
	v_mul_f16_e64 v147, 0x3a52, v147
	;; [unrolled: 1-line block ×5, first 2 shown]
	v_fma_f16 v142, 0x2b26, v142, v140
	v_fma_f16 v168, v174, 0x39e0, -v172
	v_fma_f16 v140, v174, 0xb9e0, -v140
	v_fma_f16 v170, 0x3574, v21, v176
	v_fma_f16 v171, 0x3574, v23, v177
	v_fma_f16 v19, v19, 0x3b00, -v176
	v_fma_f16 v36, v36, 0x3b00, -v177
	;; [unrolled: 1-line block ×4, first 2 shown]
	v_add_f16_e64 v12, v13, v162
	v_add_f16_e64 v13, v46, v163
	v_fma_f16 v174, 0x3574, v42, v186
	v_fma_f16 v41, v41, 0x3b00, -v186
	v_fma_f16 v42, v42, 0xb574, -v188
	v_fmamk_f16 v51, v51, 0xbcab, v14
	v_fma_f16 v52, 0xbcab, v52, v139
	v_fma_f16 v143, 0x2b26, v143, v141
	v_fmac_f16_e64 v166, 0x370e, v16
	v_fmac_f16_e64 v167, 0x370e, v37
	v_fmac_f16_e32 v18, 0x370e, v16
	v_fmac_f16_e32 v35, 0x370e, v37
	;; [unrolled: 1-line block ×4, first 2 shown]
	v_fma_f16 v16, 0xbcab, v144, v15
	v_fma_f16 v37, 0xbcab, v145, v138
	v_fma_f16 v169, v175, 0x39e0, -v173
	v_fma_f16 v141, v175, 0xb9e0, -v141
	v_fma_f16 v46, 0x2b26, v148, v146
	v_fma_f16 v148, 0x2b26, v149, v147
	v_fma_f16 v149, v182, 0x39e0, -v181
	v_fma_f16 v172, v183, 0x39e0, -v184
	;; [unrolled: 1-line block ×4, first 2 shown]
	v_fma_f16 v173, 0x3574, v39, v185
	v_fma_f16 v40, v40, 0x3b00, -v185
	v_fma_f16 v39, v39, 0xb574, -v187
	v_fmac_f16_e64 v170, 0x370e, v17
	v_fmac_f16_e64 v171, 0x370e, v38
	v_fmac_f16_e32 v19, 0x370e, v17
	v_fmac_f16_e32 v36, 0x370e, v38
	;; [unrolled: 1-line block ×4, first 2 shown]
	v_fma_f16 v17, 0xbcab, v162, v12
	v_fma_f16 v38, 0xbcab, v163, v13
	v_fmac_f16_e64 v174, 0x370e, v45
	v_fmac_f16_e32 v41, 0x370e, v45
	v_fmac_f16_e32 v42, 0x370e, v45
	v_add_f16_e32 v45, v49, v51
	v_add_f16_e32 v49, v50, v52
	v_pack_b32_f16 v15, v15, v138
	v_add_f16_e64 v50, v164, v51
	v_add_f16_e64 v138, v165, v52
	v_add_f16_e32 v47, v47, v51
	v_add_f16_e32 v48, v48, v52
	v_add_f16_e64 v51, v142, v16
	v_add_f16_e64 v52, v143, v37
	v_pack_b32_f16 v14, v14, v139
	v_fmac_f16_e64 v173, 0x370e, v180
	v_fmac_f16_e64 v40, 0x370e, v180
	;; [unrolled: 1-line block ×3, first 2 shown]
	v_add_f16_e64 v139, v168, v16
	v_add_f16_e64 v142, v169, v37
	;; [unrolled: 1-line block ×4, first 2 shown]
	v_add_f16_e32 v46, v46, v17
	v_add_f16_e64 v140, v148, v38
	v_add_f16_e64 v141, v149, v17
	v_add_f16_e64 v143, v172, v38
	v_add_f16_e64 v17, v146, v17
	v_add_f16_e64 v144, v147, v38
	v_add_f16_e64 v145, v167, v45
	v_sub_f16_e64 v146, v49, v166
	v_add_f16_e64 v147, v22, v47
	v_sub_f16_e64 v148, v48, v20
	v_sub_f16_e64 v149, v50, v35
	v_add_f16_e64 v172, v18, v138
	v_add_f16_e32 v50, v35, v50
	v_sub_f16_e64 v18, v138, v18
	v_sub_f16_e32 v22, v47, v22
	v_add_f16_e32 v20, v20, v48
	v_sub_f16_e64 v45, v45, v167
	v_add_f16_e64 v47, v166, v49
	v_add_f16_e64 v48, v171, v51
	v_sub_f16_e64 v49, v52, v170
	v_add_f16_e64 v138, v23, v16
	v_sub_f16_e64 v175, v37, v21
	v_sub_f16_e64 v176, v139, v36
	v_add_f16_e64 v177, v19, v142
	v_add_f16_e64 v139, v36, v139
	v_sub_f16_e64 v19, v142, v19
	v_sub_f16_e32 v16, v16, v23
	v_add_f16_e32 v21, v21, v37
	v_sub_f16_e64 v23, v51, v171
	v_add_f16_e64 v51, v170, v52
	v_add_f16_e64 v168, v174, v46
	v_sub_f16_e64 v169, v140, v173
	v_add_f16_e32 v35, v42, v17
	v_sub_f16_e64 v163, v144, v39
	v_sub_f16_e64 v36, v141, v41
	v_add_f16_e64 v162, v40, v143
	v_add_f16_e64 v37, v41, v141
	v_sub_f16_e64 v164, v143, v40
	v_sub_f16_e32 v38, v17, v42
	v_add_f16_e64 v165, v39, v144
	v_sub_f16_e64 v166, v46, v174
	v_add_f16_e64 v167, v173, v140
	v_pack_b32_f16 v17, v145, v146
	v_pack_b32_f16 v39, v147, v148
	;; [unrolled: 1-line block ×12, first 2 shown]
	ds_store_2addr_b32 v137, v14, v17 offset1:48
	ds_store_2addr_b32 v137, v39, v40 offset0:96 offset1:144
	ds_store_2addr_b32 v137, v18, v20 offset0:192 offset1:240
	ds_store_b32 v137, v22 offset:1152
	ds_store_2addr_b32 v136, v15, v41 offset1:48
	ds_store_2addr_b32 v136, v42, v45 offset0:96 offset1:144
	ds_store_2addr_b32 v136, v19, v16 offset0:192 offset1:240
	ds_store_b32 v136, v21 offset:1152
	s_and_saveexec_b32 s1, s0
	s_cbranch_execz .LBB0_23
; %bb.22:
	v_lshlrev_b32_e32 v14, 2, v127
	v_perm_b32 v12, v13, v12, 0x5040100
	v_perm_b32 v13, v169, v168, 0x5040100
	;; [unrolled: 1-line block ×4, first 2 shown]
	v_add_nc_u32_e32 v17, 0x1400, v14
	v_perm_b32 v18, v164, v37, 0x5040100
	v_perm_b32 v19, v165, v38, 0x5040100
	v_add_nc_u32_e32 v20, 0x1800, v14
	v_perm_b32 v21, v167, v166, 0x5040100
	ds_store_2addr_b32 v17, v12, v13 offset0:64 offset1:112
	ds_store_2addr_b32 v17, v15, v16 offset0:160 offset1:208
	ds_store_2addr_b32 v20, v18, v19 offset1:48
	ds_store_b32 v14, v21 offset:6528
.LBB0_23:
	s_wait_alu 0xfffe
	s_or_b32 exec_lo, exec_lo, s1
	v_lshlrev_b32_e32 v12, 4, v75
	global_wb scope:SCOPE_SE
	s_wait_dscnt 0x0
	s_barrier_signal -1
	s_barrier_wait -1
	global_inv scope:SCOPE_SE
	v_lshlrev_b32_e32 v13, 4, v44
	global_load_b128 v[20:23], v12, s[2:3] offset:1336
	v_lshlrev_b32_e32 v12, 4, v43
	v_add_nc_u32_e32 v41, 0x200, v54
	s_clause 0x1
	global_load_b128 v[16:19], v13, s[2:3] offset:1336
	global_load_b128 v[12:15], v12, s[2:3] offset:1336
	v_add_nc_u32_e32 v39, 0xa00, v54
	v_add_nc_u32_e32 v40, 0xc00, v54
	;; [unrolled: 1-line block ×3, first 2 shown]
	ds_load_2addr_b32 v[44:45], v54 offset1:112
	v_add_nc_u32_e32 v42, 0x600, v54
	v_add_nc_u32_e32 v43, 0x1000, v54
	ds_load_b32 v48, v54 offset:6272
	ds_load_2addr_b32 v[46:47], v41 offset0:96 offset1:208
	ds_load_2addr_b32 v[50:51], v39 offset0:32 offset1:144
	;; [unrolled: 1-line block ×6, first 2 shown]
	s_add_nc_u64 s[2:3], s[16:17], 0x1a40
	s_wait_dscnt 0x6
	v_lshrrev_b32_e32 v179, 16, v48
	s_wait_dscnt 0x5
	v_lshrrev_b32_e32 v180, 16, v47
	;; [unrolled: 2-line block ×6, first 2 shown]
	v_lshrrev_b32_e32 v185, 16, v51
	s_wait_dscnt 0x0
	v_lshrrev_b32_e32 v186, 16, v176
	v_lshrrev_b32_e32 v187, 16, v173
	;; [unrolled: 1-line block ×8, first 2 shown]
	s_wait_loadcnt 0x2
	v_lshrrev_b32_e32 v149, 16, v20
	v_lshrrev_b32_e32 v148, 16, v21
	v_lshrrev_b32_e32 v147, 16, v22
	v_lshrrev_b32_e32 v146, 16, v23
	s_wait_loadcnt 0x1
	v_lshrrev_b32_e32 v145, 16, v16
	v_lshrrev_b32_e32 v144, 16, v17
	v_lshrrev_b32_e32 v143, 16, v18
	v_lshrrev_b32_e32 v142, 16, v19
	;; [unrolled: 5-line block ×3, first 2 shown]
	v_mul_f16_e64 v192, v180, v149
	v_mul_f16_e64 v193, v47, v149
	;; [unrolled: 1-line block ×24, first 2 shown]
	v_fma_f16 v47, v47, v20, -v192
	v_fmac_f16_e64 v193, v180, v20
	v_fma_f16 v50, v50, v21, -v194
	v_fmac_f16_e64 v195, v181, v21
	;; [unrolled: 2-line block ×12, first 2 shown]
	v_add_f16_e64 v177, v44, v47
	v_add_f16_e64 v179, v50, v180
	v_sub_f16_e64 v183, v47, v50
	v_sub_f16_e64 v184, v172, v180
	v_add_f16_e64 v185, v47, v172
	v_add_f16_e64 v189, v52, v193
	;; [unrolled: 1-line block ×4, first 2 shown]
	v_sub_f16_e64 v181, v193, v199
	v_sub_f16_e64 v186, v50, v47
	;; [unrolled: 1-line block ×9, first 2 shown]
	v_add_f16_e64 v200, v45, v171
	v_add_f16_e64 v202, v51, v174
	v_sub_f16_e64 v208, v171, v51
	v_add_f16_e64 v212, v171, v173
	v_sub_f16_e64 v214, v51, v171
	v_add_f16_e64 v217, v178, v201
	v_add_f16_e64 v218, v203, v205
	v_sub_f16_e64 v219, v171, v173
	v_sub_f16_e64 v171, v201, v203
	v_sub_f16_e64 v221, v207, v205
	v_add_f16_e64 v222, v201, v207
	v_add_f16_e64 v224, v46, v175
	;; [unrolled: 1-line block ×8, first 2 shown]
	v_fma_f16 v177, -0.5, v179, v44
	v_add_f16_e64 v179, v183, v184
	v_fma_f16 v44, -0.5, v185, v44
	v_add_f16_e64 v184, v189, v195
	v_fma_f16 v185, -0.5, v190, v52
	v_sub_f16_e64 v182, v195, v197
	v_sub_f16_e64 v210, v173, v174
	;; [unrolled: 1-line block ×6, first 2 shown]
	v_fmac_f16_e64 v52, -0.5, v196
	v_sub_f16_e64 v204, v201, v207
	v_sub_f16_e64 v206, v203, v205
	;; [unrolled: 1-line block ×9, first 2 shown]
	v_add_f16_e64 v183, v186, v187
	v_add_f16_e64 v186, v192, v194
	;; [unrolled: 1-line block ×4, first 2 shown]
	v_fma_f16 v189, -0.5, v202, v45
	v_fmac_f16_e64 v45, -0.5, v212
	v_add_f16_e64 v193, v217, v203
	v_fma_f16 v194, -0.5, v218, v178
	v_add_f16_e64 v195, v171, v221
	v_fmac_f16_e64 v178, -0.5, v222
	v_add_f16_e64 v198, v224, v170
	v_fma_f16 v170, -0.5, v225, v46
	v_fmac_f16_e64 v46, -0.5, v230
	v_add_f16_e64 v202, v233, v211
	v_fma_f16 v171, -0.5, v234, v188
	v_fmac_f16_e64 v188, -0.5, v238
	v_add_f16_e64 v50, v50, v180
	v_fma_f16 v180, 0x3b9c, v181, v177
	v_add_f16_e64 v184, v184, v197
	v_fma_f16 v197, 0xbb9c, v47, v185
	v_add_f16_e64 v190, v208, v210
	v_add_f16_e64 v208, v209, v239
	v_fma_f16 v209, 0xbb9c, v182, v44
	v_fma_f16 v210, 0x3b9c, v191, v52
	v_fmac_f16_e64 v44, 0x3b9c, v182
	v_fmac_f16_e64 v52, 0xbb9c, v191
	;; [unrolled: 1-line block ×4, first 2 shown]
	v_sub_f16_e64 v201, v203, v201
	v_sub_f16_e64 v223, v205, v207
	;; [unrolled: 1-line block ×5, first 2 shown]
	v_add_f16_e64 v192, v214, v216
	v_add_f16_e64 v51, v51, v174
	v_fma_f16 v174, 0x3b9c, v204, v189
	v_fmac_f16_e64 v189, 0xbb9c, v204
	v_fma_f16 v211, 0xbb9c, v206, v45
	v_fmac_f16_e64 v45, 0x3b9c, v206
	v_add_f16_e64 v193, v193, v205
	v_fma_f16 v205, 0xbb9c, v219, v194
	v_fmac_f16_e64 v194, 0x3b9c, v219
	v_fma_f16 v212, 0x3b9c, v220, v178
	v_fmac_f16_e64 v178, 0xbb9c, v220
	;; [unrolled: 5-line block ×4, first 2 shown]
	v_fmac_f16_e64 v180, 0x38b4, v182
	v_fmac_f16_e64 v197, 0xb8b4, v191
	;; [unrolled: 1-line block ×5, first 2 shown]
	v_fmac_f16_e32 v52, 0x38b4, v47
	v_fmac_f16_e64 v177, 0xb8b4, v182
	v_fmac_f16_e64 v185, 0x38b4, v191
	v_add_f16_e64 v196, v201, v223
	v_add_f16_e64 v200, v228, v229
	;; [unrolled: 1-line block ×5, first 2 shown]
	v_fmac_f16_e64 v174, 0x38b4, v206
	v_fmac_f16_e64 v189, 0xb8b4, v206
	;; [unrolled: 1-line block ×4, first 2 shown]
	v_add_f16_e64 v51, v193, v207
	v_fmac_f16_e64 v205, 0xb8b4, v220
	v_fmac_f16_e64 v194, 0x38b4, v220
	;; [unrolled: 1-line block ×14, first 2 shown]
	v_add_f16_e64 v50, v50, v172
	v_add_f16_e64 v172, v184, v199
	v_fmac_f16_e64 v209, 0x34f2, v183
	v_fmac_f16_e64 v210, 0x34f2, v187
	;; [unrolled: 1-line block ×6, first 2 shown]
	v_add_f16_e64 v48, v176, v48
	v_add_f16_e64 v173, v202, v215
	v_fmac_f16_e64 v174, 0x34f2, v190
	v_fmac_f16_e64 v189, 0x34f2, v190
	;; [unrolled: 1-line block ×16, first 2 shown]
	v_pack_b32_f16 v47, v47, v51
	v_pack_b32_f16 v51, v180, v197
	;; [unrolled: 1-line block ×15, first 2 shown]
	ds_store_b32 v54, v51 offset:1344
	ds_store_b32 v54, v172 offset:2688
	;; [unrolled: 1-line block ×4, first 2 shown]
	ds_store_2addr_b32 v54, v50, v47 offset1:112
	ds_store_b32 v54, v45 offset:4480
	ds_store_b32 v54, v175 offset:5824
	ds_store_b32 v54, v174 offset:3136
	ds_store_b32 v54, v48 offset:896
	ds_store_2addr_b32 v42, v173, v176 offset0:64 offset1:176
	ds_store_b32 v54, v177 offset:3584
	ds_store_b32 v54, v46 offset:4928
	;; [unrolled: 1-line block ×3, first 2 shown]
	global_wb scope:SCOPE_SE
	s_wait_dscnt 0x0
	s_barrier_signal -1
	s_barrier_wait -1
	global_inv scope:SCOPE_SE
	s_clause 0xd
	global_load_b32 v47, v[24:25], off offset:6720
	global_load_b32 v48, v54, s[2:3] offset:3360
	global_load_b32 v52, v54, s[2:3] offset:448
	;; [unrolled: 1-line block ×13, first 2 shown]
	ds_load_2addr_b32 v[45:46], v54 offset1:112
	v_add_nc_u32_e32 v191, 0x400, v54
	v_add_nc_u32_e32 v192, 0x800, v54
	s_wait_dscnt 0x0
	v_lshrrev_b32_e32 v50, 16, v45
	v_lshrrev_b32_e32 v193, 16, v46
	s_wait_loadcnt 0xc
	v_lshrrev_b32_e32 v194, 16, v48
	s_wait_loadcnt 0xb
	;; [unrolled: 2-line block ×6, first 2 shown]
	v_lshrrev_b32_e32 v198, 16, v183
	v_mul_f16_e64 v202, v46, v176
	s_wait_loadcnt 0x6
	v_lshrrev_b32_e32 v199, 16, v184
	s_wait_loadcnt 0x5
	v_lshrrev_b32_e32 v200, 16, v185
	;; [unrolled: 2-line block ×4, first 2 shown]
	v_lshrrev_b32_e32 v44, 16, v47
	v_fmac_f16_e64 v202, v193, v52
	s_wait_loadcnt 0x0
	v_lshrrev_b32_e32 v205, 16, v190
	s_delay_alu instid0(VALU_DEP_3) | instskip(SKIP_2) | instid1(VALU_DEP_3)
	v_mul_f16_e32 v51, v50, v44
	v_mul_f16_e64 v172, v45, v44
	v_add_nc_u32_e32 v44, 0xe00, v54
	v_fma_f16 v45, v45, v47, -v51
	s_delay_alu instid0(VALU_DEP_3) | instskip(SKIP_1) | instid1(VALU_DEP_2)
	v_fmac_f16_e64 v172, v50, v47
	v_add_nc_u32_e32 v47, 0x1200, v54
	v_pack_b32_f16 v45, v45, v172
	ds_store_b32 v54, v45
	v_mul_f16_e64 v45, v193, v176
	ds_load_2addr_b32 v[50:51], v39 offset0:32 offset1:200
	ds_load_2addr_b32 v[172:173], v44 offset0:56 offset1:168
	ds_load_2addr_b32 v[174:175], v41 offset0:96 offset1:208
	ds_load_2addr_b32 v[176:177], v47 offset0:24 offset1:136
	ds_load_2addr_b32 v[178:179], v42 offset0:64 offset1:176
	v_fma_f16 v204, v46, v52, -v45
	ds_load_2addr_b32 v[45:46], v49 offset0:120 offset1:232
	v_lshrrev_b32_e32 v52, 16, v188
	v_lshrrev_b32_e32 v193, 16, v189
	v_pack_b32_f16 v202, v204, v202
	s_wait_dscnt 0x5
	v_lshrrev_b32_e32 v204, 16, v51
	s_wait_dscnt 0x4
	v_lshrrev_b32_e32 v207, 16, v172
	;; [unrolled: 2-line block ×3, first 2 shown]
	v_lshrrev_b32_e32 v211, 16, v173
	v_lshrrev_b32_e32 v213, 16, v175
	s_wait_dscnt 0x2
	v_lshrrev_b32_e32 v215, 16, v176
	s_wait_dscnt 0x1
	v_lshrrev_b32_e32 v217, 16, v178
	v_lshrrev_b32_e32 v219, 16, v177
	s_wait_dscnt 0x0
	v_lshrrev_b32_e32 v223, 16, v45
	v_mul_f16_e64 v206, v51, v194
	v_mul_f16_e64 v208, v172, v195
	v_lshrrev_b32_e32 v221, 16, v179
	v_lshrrev_b32_e32 v225, 16, v50
	;; [unrolled: 1-line block ×3, first 2 shown]
	v_mul_f16_e64 v194, v204, v194
	v_mul_f16_e64 v195, v207, v195
	;; [unrolled: 1-line block ×19, first 2 shown]
	v_fmac_f16_e64 v206, v204, v48
	v_fmac_f16_e64 v208, v207, v180
	v_mul_f16_e64 v203, v221, v203
	v_mul_f16_e64 v193, v225, v193
	;; [unrolled: 1-line block ×3, first 2 shown]
	v_fma_f16 v48, v51, v48, -v194
	v_fma_f16 v51, v172, v180, -v195
	v_fmac_f16_e64 v210, v209, v181
	v_fma_f16 v172, v174, v181, -v196
	v_fmac_f16_e64 v212, v211, v182
	v_fmac_f16_e64 v214, v213, v183
	;; [unrolled: 1-line block ×3, first 2 shown]
	v_fma_f16 v173, v173, v182, -v197
	v_fma_f16 v174, v175, v183, -v198
	;; [unrolled: 1-line block ×3, first 2 shown]
	v_fmac_f16_e64 v218, v217, v185
	v_fma_f16 v176, v178, v185, -v200
	v_fmac_f16_e64 v220, v219, v186
	v_fmac_f16_e64 v224, v223, v188
	v_fma_f16 v177, v177, v186, -v201
	v_fma_f16 v45, v45, v188, -v52
	v_fmac_f16_e64 v222, v221, v187
	v_fmac_f16_e64 v226, v225, v189
	;; [unrolled: 1-line block ×3, first 2 shown]
	v_fma_f16 v178, v179, v187, -v203
	v_fma_f16 v50, v50, v189, -v193
	;; [unrolled: 1-line block ×3, first 2 shown]
	v_pack_b32_f16 v48, v48, v206
	v_pack_b32_f16 v51, v51, v208
	;; [unrolled: 1-line block ×12, first 2 shown]
	ds_store_2addr_b32 v40, v48, v51 offset0:72 offset1:184
	ds_store_2addr_b32 v54, v202, v52 offset0:112 offset1:224
	;; [unrolled: 1-line block ×6, first 2 shown]
	ds_store_b32 v54, v46 offset:6048
	s_and_saveexec_b32 s1, vcc_lo
	s_cbranch_execz .LBB0_25
; %bb.24:
	s_wait_alu 0xfffe
	v_add_co_u32 v45, s2, s2, v54
	s_wait_alu 0xf1ff
	v_add_co_ci_u32_e64 v46, null, s3, 0, s2
	s_clause 0x1
	global_load_b32 v40, v[45:46], off offset:3136
	global_load_b32 v43, v[45:46], off offset:6496
	ds_load_b32 v45, v54 offset:3136
	ds_load_b32 v46, v54 offset:6496
	s_wait_dscnt 0x1
	v_lshrrev_b32_e32 v48, 16, v45
	s_wait_dscnt 0x0
	v_lshrrev_b32_e32 v51, 16, v46
	s_wait_loadcnt 0x1
	v_lshrrev_b32_e32 v50, 16, v40
	s_wait_loadcnt 0x0
	v_lshrrev_b32_e32 v52, 16, v43
	s_delay_alu instid0(VALU_DEP_2) | instskip(SKIP_1) | instid1(VALU_DEP_3)
	v_mul_f16_e64 v172, v48, v50
	v_mul_f16_e32 v50, v45, v50
	v_mul_f16_e64 v173, v51, v52
	v_mul_f16_e32 v52, v46, v52
	s_delay_alu instid0(VALU_DEP_4) | instskip(NEXT) | instid1(VALU_DEP_4)
	v_fma_f16 v45, v45, v40, -v172
	v_fmac_f16_e32 v50, v48, v40
	s_delay_alu instid0(VALU_DEP_4) | instskip(NEXT) | instid1(VALU_DEP_4)
	v_fma_f16 v40, v46, v43, -v173
	v_fmac_f16_e32 v52, v51, v43
	s_delay_alu instid0(VALU_DEP_3) | instskip(NEXT) | instid1(VALU_DEP_2)
	v_pack_b32_f16 v43, v45, v50
	v_pack_b32_f16 v40, v40, v52
	ds_store_b32 v54, v43 offset:3136
	ds_store_b32 v54, v40 offset:6496
.LBB0_25:
	s_wait_alu 0xfffe
	s_or_b32 exec_lo, exec_lo, s1
	global_wb scope:SCOPE_SE
	s_wait_dscnt 0x0
	s_barrier_signal -1
	s_barrier_wait -1
	global_inv scope:SCOPE_SE
	ds_load_2addr_b32 v[45:46], v54 offset1:112
	ds_load_2addr_b32 v[39:40], v39 offset0:32 offset1:200
	ds_load_2addr_b32 v[51:52], v44 offset0:56 offset1:168
	;; [unrolled: 1-line block ×6, first 2 shown]
	v_lshlrev_b32_e32 v173, 2, v102
	v_lshlrev_b32_e32 v172, 2, v103
	s_and_saveexec_b32 s1, vcc_lo
	s_cbranch_execz .LBB0_27
; %bb.26:
	ds_load_b32 v170, v54 offset:3136
	ds_load_b32 v168, v54 offset:6496
	s_wait_dscnt 0x1
	v_lshrrev_b32_e32 v171, 16, v170
	s_wait_dscnt 0x0
	v_lshrrev_b32_e32 v169, 16, v168
.LBB0_27:
	s_wait_alu 0xfffe
	s_or_b32 exec_lo, exec_lo, s1
	s_wait_dscnt 0x5
	v_pk_add_f16 v175, v45, v40 neg_lo:[0,1] neg_hi:[0,1]
	s_wait_dscnt 0x4
	v_pk_add_f16 v51, v46, v51 neg_lo:[0,1] neg_hi:[0,1]
	;; [unrolled: 2-line block ×3, first 2 shown]
	v_sub_f16_e64 v168, v170, v168
	v_sub_f16_e64 v169, v171, v169
	v_pk_fma_f16 v174, v45, 2.0, v175 op_sel_hi:[1,0,1] neg_lo:[0,0,1] neg_hi:[0,0,1]
	s_wait_dscnt 0x2
	v_pk_add_f16 v47, v44, v47 neg_lo:[0,1] neg_hi:[0,1]
	s_wait_dscnt 0x0
	v_pk_add_f16 v40, v39, v50 neg_lo:[0,1] neg_hi:[0,1]
	v_pk_fma_f16 v50, v46, 2.0, v51 op_sel_hi:[1,0,1] neg_lo:[0,0,1] neg_hi:[0,0,1]
	v_pk_add_f16 v176, v41, v48 neg_lo:[0,1] neg_hi:[0,1]
	v_pk_add_f16 v49, v42, v49 neg_lo:[0,1] neg_hi:[0,1]
	v_fma_f16 v102, v170, 2.0, -v168
	v_fma_f16 v103, v171, 2.0, -v169
	global_wb scope:SCOPE_SE
	s_barrier_signal -1
	s_barrier_wait -1
	global_inv scope:SCOPE_SE
	ds_store_b64 v88, v[174:175]
	ds_store_b64 v90, v[50:51]
	v_pk_fma_f16 v51, v43, 2.0, v52 op_sel_hi:[1,0,1] neg_lo:[0,0,1] neg_hi:[0,0,1]
	v_pk_fma_f16 v46, v44, 2.0, v47 op_sel_hi:[1,0,1] neg_lo:[0,0,1] neg_hi:[0,0,1]
	;; [unrolled: 1-line block ×5, first 2 shown]
	ds_store_b64 v87, v[51:52]
	ds_store_b64 v89, v[46:47]
	;; [unrolled: 1-line block ×5, first 2 shown]
	s_and_saveexec_b32 s1, vcc_lo
	s_cbranch_execz .LBB0_29
; %bb.28:
	v_perm_b32 v40, v169, v168, 0x5040100
	v_perm_b32 v39, v103, v102, 0x5040100
	ds_store_b64 v92, v[39:40]
.LBB0_29:
	s_wait_alu 0xfffe
	s_or_b32 exec_lo, exec_lo, s1
	v_add_nc_u32_e32 v41, 0xe00, v54
	v_add_nc_u32_e32 v39, 0xa00, v54
	;; [unrolled: 1-line block ×6, first 2 shown]
	global_wb scope:SCOPE_SE
	s_wait_dscnt 0x0
	s_barrier_signal -1
	s_barrier_wait -1
	global_inv scope:SCOPE_SE
	ds_load_2addr_b32 v[43:44], v54 offset1:112
	ds_load_2addr_b32 v[39:40], v39 offset0:32 offset1:200
	ds_load_2addr_b32 v[51:52], v41 offset0:56 offset1:168
	;; [unrolled: 1-line block ×6, first 2 shown]
	s_and_saveexec_b32 s1, vcc_lo
	s_cbranch_execz .LBB0_31
; %bb.30:
	ds_load_b32 v102, v54 offset:3136
	ds_load_b32 v168, v54 offset:6496
	s_wait_dscnt 0x1
	v_lshrrev_b32_e32 v103, 16, v102
	s_wait_dscnt 0x0
	v_lshrrev_b32_e32 v169, 16, v168
.LBB0_31:
	s_wait_alu 0xfffe
	s_or_b32 exec_lo, exec_lo, s1
	s_wait_dscnt 0x5
	v_lshrrev_b32_e32 v88, 16, v40
	s_wait_dscnt 0x4
	v_lshrrev_b32_e32 v90, 16, v51
	v_lshrrev_b32_e32 v92, 16, v52
	s_wait_dscnt 0x2
	v_lshrrev_b32_e32 v171, 16, v49
	v_mul_f16_e64 v177, v104, v40
	v_mul_f16_e64 v175, v104, v88
	;; [unrolled: 1-line block ×4, first 2 shown]
	v_lshrrev_b32_e32 v173, 16, v50
	s_wait_dscnt 0x0
	v_lshrrev_b32_e32 v176, 16, v47
	v_fmac_f16_e64 v175, v85, v40
	v_mul_f16_e32 v40, v104, v90
	v_fma_f16 v88, v85, v88, -v177
	v_mul_f16_e64 v177, v104, v51
	v_fmac_f16_e64 v180, v85, v52
	v_fma_f16 v52, v85, v92, -v181
	v_fmac_f16_e32 v40, v85, v51
	v_mul_f16_e64 v51, v104, v171
	v_mul_f16_e32 v92, v104, v49
	v_lshrrev_b32_e32 v179, 16, v48
	v_fma_f16 v90, v85, v90, -v177
	v_mul_f16_e64 v177, v104, v50
	v_fmac_f16_e32 v51, v85, v49
	v_mul_f16_e64 v49, v104, v173
	v_mul_f16_e64 v181, v104, v176
	v_fma_f16 v92, v85, v171, -v92
	v_mul_f16_e64 v171, v104, v47
	v_lshrrev_b32_e32 v87, 16, v43
	v_fmac_f16_e32 v49, v85, v50
	v_fma_f16 v50, v85, v173, -v177
	v_fmac_f16_e64 v181, v85, v47
	v_mul_f16_e64 v47, v104, v179
	v_fma_f16 v171, v85, v176, -v171
	v_mul_f16_e64 v173, v104, v48
	v_mul_f16_e64 v176, v104, v169
	;; [unrolled: 1-line block ×3, first 2 shown]
	v_lshrrev_b32_e32 v89, 16, v44
	v_lshrrev_b32_e32 v91, 16, v45
	v_fmac_f16_e32 v47, v85, v48
	v_sub_f16_e64 v48, v43, v175
	v_fma_f16 v173, v85, v179, -v173
	v_fmac_f16_e64 v176, v85, v168
	v_fma_f16 v85, v85, v169, -v104
	v_sub_f16_e32 v104, v87, v88
	v_lshrrev_b32_e32 v170, 16, v46
	v_sub_f16_e32 v40, v44, v40
	v_sub_f16_e32 v90, v89, v90
	v_lshrrev_b32_e32 v172, 16, v41
	v_lshrrev_b32_e32 v174, 16, v42
	;; [unrolled: 1-line block ×3, first 2 shown]
	v_fma_f16 v43, v43, 2.0, -v48
	v_sub_f16_e64 v168, v45, v180
	v_fma_f16 v169, v87, 2.0, -v104
	v_sub_f16_e32 v52, v91, v52
	v_fma_f16 v44, v44, 2.0, -v40
	v_fma_f16 v175, v89, 2.0, -v90
	v_sub_f16_e32 v51, v46, v51
	v_sub_f16_e64 v92, v170, v92
	v_sub_f16_e32 v49, v41, v49
	v_sub_f16_e64 v50, v172, v50
	v_sub_f16_e64 v177, v42, v181
	;; [unrolled: 1-line block ×3, first 2 shown]
	v_sub_f16_e32 v47, v39, v47
	v_sub_f16_e64 v173, v178, v173
	v_fma_f16 v45, v45, 2.0, -v168
	v_fma_f16 v91, v91, 2.0, -v52
	v_sub_f16_e64 v88, v102, v176
	v_sub_f16_e32 v89, v103, v85
	v_pack_b32_f16 v43, v43, v169
	v_pack_b32_f16 v48, v48, v104
	v_fma_f16 v46, v46, 2.0, -v51
	v_fma_f16 v170, v170, 2.0, -v92
	v_pack_b32_f16 v44, v44, v175
	v_pack_b32_f16 v40, v40, v90
	v_fma_f16 v41, v41, 2.0, -v49
	v_fma_f16 v172, v172, 2.0, -v50
	;; [unrolled: 1-line block ×8, first 2 shown]
	global_wb scope:SCOPE_SE
	s_barrier_signal -1
	s_barrier_wait -1
	global_inv scope:SCOPE_SE
	ds_store_2addr_b32 v98, v43, v48 offset1:2
	ds_store_2addr_b32 v99, v44, v40 offset1:2
	v_pack_b32_f16 v40, v45, v91
	v_pack_b32_f16 v43, v168, v52
	v_pack_b32_f16 v44, v46, v170
	v_pack_b32_f16 v45, v51, v92
	v_pack_b32_f16 v41, v41, v172
	v_pack_b32_f16 v46, v49, v50
	v_pack_b32_f16 v42, v42, v174
	v_pack_b32_f16 v48, v177, v171
	v_pack_b32_f16 v39, v39, v176
	v_pack_b32_f16 v47, v47, v173
	ds_store_2addr_b32 v93, v40, v43 offset1:2
	ds_store_2addr_b32 v94, v44, v45 offset1:2
	;; [unrolled: 1-line block ×5, first 2 shown]
	s_and_saveexec_b32 s1, vcc_lo
	s_cbranch_execz .LBB0_33
; %bb.32:
	v_and_or_b32 v39, 0x6fc, v53, v84
	v_perm_b32 v40, v87, v85, 0x5040100
	v_perm_b32 v41, v89, v88, 0x5040100
	s_delay_alu instid0(VALU_DEP_3)
	v_lshlrev_b32_e32 v39, 2, v39
	ds_store_2addr_b32 v39, v40, v41 offset1:2
.LBB0_33:
	s_wait_alu 0xfffe
	s_or_b32 exec_lo, exec_lo, s1
	v_add_nc_u32_e32 v41, 0xe00, v54
	v_add_nc_u32_e32 v39, 0xa00, v54
	;; [unrolled: 1-line block ×6, first 2 shown]
	global_wb scope:SCOPE_SE
	s_wait_dscnt 0x0
	s_barrier_signal -1
	s_barrier_wait -1
	global_inv scope:SCOPE_SE
	ds_load_2addr_b32 v[43:44], v54 offset1:112
	ds_load_2addr_b32 v[39:40], v39 offset0:32 offset1:200
	ds_load_2addr_b32 v[51:52], v41 offset0:56 offset1:168
	;; [unrolled: 1-line block ×6, first 2 shown]
	s_and_saveexec_b32 s1, vcc_lo
	s_cbranch_execz .LBB0_35
; %bb.34:
	ds_load_b32 v85, v54 offset:3136
	ds_load_b32 v88, v54 offset:6496
	s_wait_dscnt 0x1
	v_lshrrev_b32_e32 v87, 16, v85
	s_wait_dscnt 0x0
	v_lshrrev_b32_e32 v89, 16, v88
.LBB0_35:
	s_wait_alu 0xfffe
	s_or_b32 exec_lo, exec_lo, s1
	s_wait_dscnt 0x5
	v_lshrrev_b32_e32 v90, 16, v40
	s_wait_dscnt 0x4
	v_lshrrev_b32_e32 v92, 16, v51
	v_lshrrev_b32_e32 v94, 16, v52
	s_wait_dscnt 0x2
	v_lshrrev_b32_e32 v96, 16, v49
	v_mul_f16_e32 v104, v113, v40
	v_mul_f16_e32 v102, v113, v90
	s_wait_dscnt 0x0
	v_lshrrev_b32_e32 v103, 16, v47
	v_mul_f16_e64 v170, v113, v94
	v_mul_f16_e64 v171, v113, v52
	v_lshrrev_b32_e32 v98, 16, v50
	v_fmac_f16_e32 v102, v100, v40
	v_mul_f16_e32 v40, v113, v92
	v_fma_f16 v90, v100, v90, -v104
	v_mul_f16_e32 v104, v113, v51
	v_lshrrev_b32_e32 v169, 16, v48
	v_fmac_f16_e64 v170, v100, v52
	v_fmac_f16_e32 v40, v100, v51
	v_mul_f16_e32 v51, v113, v96
	v_fma_f16 v52, v100, v94, -v171
	v_mul_f16_e32 v94, v113, v49
	v_mul_f16_e64 v171, v113, v103
	v_fma_f16 v92, v100, v92, -v104
	v_fmac_f16_e32 v51, v100, v49
	v_mul_f16_e32 v49, v113, v98
	v_mul_f16_e32 v104, v113, v50
	v_lshrrev_b32_e32 v84, 16, v43
	v_fma_f16 v94, v100, v96, -v94
	v_mul_f16_e32 v96, v113, v47
	v_fmac_f16_e64 v171, v100, v47
	v_mul_f16_e64 v47, v113, v169
	v_lshrrev_b32_e32 v91, 16, v44
	v_fmac_f16_e32 v49, v100, v50
	v_fma_f16 v50, v100, v98, -v104
	v_mul_f16_e32 v98, v113, v48
	v_lshrrev_b32_e32 v93, 16, v45
	v_fma_f16 v96, v100, v103, -v96
	v_mul_f16_e32 v103, v113, v89
	v_mul_f16_e32 v104, v113, v88
	v_fmac_f16_e32 v47, v100, v48
	v_sub_f16_e32 v48, v43, v102
	v_sub_f16_e32 v90, v84, v90
	v_lshrrev_b32_e32 v95, 16, v46
	v_sub_f16_e32 v40, v44, v40
	v_sub_f16_e32 v92, v91, v92
	v_lshrrev_b32_e32 v97, 16, v41
	v_lshrrev_b32_e32 v99, 16, v42
	;; [unrolled: 1-line block ×3, first 2 shown]
	v_fma_f16 v98, v100, v169, -v98
	v_fmac_f16_e32 v103, v100, v88
	v_fma_f16 v89, v100, v89, -v104
	v_fma_f16 v43, v43, 2.0, -v48
	v_sub_f16_e64 v100, v45, v170
	v_fma_f16 v102, v84, 2.0, -v90
	v_sub_f16_e32 v52, v93, v52
	v_fma_f16 v44, v44, 2.0, -v40
	v_fma_f16 v91, v91, 2.0, -v92
	v_sub_f16_e32 v51, v46, v51
	v_sub_f16_e32 v94, v95, v94
	;; [unrolled: 1-line block ×4, first 2 shown]
	v_sub_f16_e64 v104, v42, v171
	v_sub_f16_e32 v96, v99, v96
	v_sub_f16_e32 v47, v39, v47
	v_sub_f16_e64 v98, v168, v98
	v_fma_f16 v45, v45, 2.0, -v100
	v_fma_f16 v93, v93, 2.0, -v52
	v_sub_f16_e32 v88, v85, v103
	v_sub_f16_e32 v84, v87, v89
	v_pack_b32_f16 v43, v43, v102
	v_pack_b32_f16 v48, v48, v90
	v_fma_f16 v46, v46, 2.0, -v51
	v_fma_f16 v95, v95, 2.0, -v94
	v_pack_b32_f16 v44, v44, v91
	v_pack_b32_f16 v40, v40, v92
	v_fma_f16 v41, v41, 2.0, -v49
	v_fma_f16 v97, v97, 2.0, -v50
	;; [unrolled: 1-line block ×8, first 2 shown]
	global_wb scope:SCOPE_SE
	s_barrier_signal -1
	s_barrier_wait -1
	global_inv scope:SCOPE_SE
	ds_store_2addr_b32 v110, v43, v48 offset1:4
	ds_store_2addr_b32 v111, v44, v40 offset1:4
	v_pack_b32_f16 v40, v45, v93
	v_pack_b32_f16 v43, v100, v52
	;; [unrolled: 1-line block ×10, first 2 shown]
	ds_store_2addr_b32 v105, v40, v43 offset1:4
	ds_store_2addr_b32 v106, v44, v45 offset1:4
	;; [unrolled: 1-line block ×5, first 2 shown]
	s_and_saveexec_b32 s1, vcc_lo
	s_cbranch_execz .LBB0_37
; %bb.36:
	v_and_or_b32 v39, 0x6f8, v53, v86
	v_perm_b32 v40, v87, v85, 0x5040100
	v_perm_b32 v41, v84, v88, 0x5040100
	s_delay_alu instid0(VALU_DEP_3)
	v_lshlrev_b32_e32 v39, 2, v39
	ds_store_2addr_b32 v39, v40, v41 offset1:4
.LBB0_37:
	s_wait_alu 0xfffe
	s_or_b32 exec_lo, exec_lo, s1
	v_add_nc_u32_e32 v41, 0xe00, v54
	v_add_nc_u32_e32 v39, 0xa00, v54
	;; [unrolled: 1-line block ×6, first 2 shown]
	global_wb scope:SCOPE_SE
	s_wait_dscnt 0x0
	s_barrier_signal -1
	s_barrier_wait -1
	global_inv scope:SCOPE_SE
	ds_load_2addr_b32 v[45:46], v54 offset1:112
	ds_load_2addr_b32 v[39:40], v39 offset0:32 offset1:200
	ds_load_2addr_b32 v[51:52], v41 offset0:56 offset1:168
	;; [unrolled: 1-line block ×6, first 2 shown]
	s_and_saveexec_b32 s1, vcc_lo
	s_cbranch_execz .LBB0_39
; %bb.38:
	ds_load_b32 v85, v54 offset:3136
	ds_load_b32 v88, v54 offset:6496
	s_wait_dscnt 0x1
	v_lshrrev_b32_e32 v87, 16, v85
	s_wait_dscnt 0x0
	v_lshrrev_b32_e32 v84, 16, v88
.LBB0_39:
	s_wait_alu 0xfffe
	s_or_b32 exec_lo, exec_lo, s1
	s_wait_dscnt 0x5
	v_lshrrev_b32_e32 v89, 16, v40
	s_wait_dscnt 0x4
	v_lshrrev_b32_e32 v91, 16, v51
	v_lshrrev_b32_e32 v93, 16, v52
	s_wait_dscnt 0x2
	v_lshrrev_b32_e32 v97, 16, v50
	v_mul_f16_e32 v106, v124, v51
	v_mul_f16_e32 v102, v124, v89
	;; [unrolled: 1-line block ×3, first 2 shown]
	v_lshrrev_b32_e32 v95, 16, v49
	s_wait_dscnt 0x0
	v_lshrrev_b32_e32 v99, 16, v47
	v_mul_f16_e32 v104, v124, v40
	v_fmac_f16_e32 v102, v112, v40
	v_mul_f16_e32 v40, v124, v93
	v_fmac_f16_e32 v105, v112, v51
	v_fma_f16 v51, v112, v91, -v106
	v_mul_f16_e32 v91, v124, v52
	v_mul_f16_e32 v106, v124, v97
	v_fma_f16 v89, v112, v89, -v104
	v_fmac_f16_e32 v40, v112, v52
	v_mul_f16_e32 v52, v124, v95
	v_mul_f16_e32 v104, v124, v49
	v_fma_f16 v91, v112, v93, -v91
	v_mul_f16_e32 v93, v124, v50
	v_fmac_f16_e32 v106, v112, v50
	v_mul_f16_e32 v50, v124, v99
	v_lshrrev_b32_e32 v103, 16, v48
	v_lshrrev_b32_e32 v86, 16, v45
	v_fmac_f16_e32 v52, v112, v49
	v_fma_f16 v49, v112, v95, -v104
	v_mul_f16_e32 v95, v124, v47
	v_fmac_f16_e32 v50, v112, v47
	v_mul_f16_e32 v47, v124, v84
	v_lshrrev_b32_e32 v90, 16, v46
	v_fma_f16 v93, v112, v97, -v93
	v_mul_f16_e32 v97, v124, v103
	v_mul_f16_e32 v104, v124, v48
	v_lshrrev_b32_e32 v92, 16, v43
	v_fma_f16 v95, v112, v99, -v95
	v_mul_f16_e32 v99, v124, v88
	v_fmac_f16_e32 v47, v112, v88
	v_sub_f16_e32 v88, v45, v102
	v_sub_f16_e32 v89, v86, v89
	v_lshrrev_b32_e32 v94, 16, v44
	v_sub_f16_e32 v102, v46, v105
	v_sub_f16_e32 v51, v90, v51
	v_lshrrev_b32_e32 v96, 16, v41
	v_lshrrev_b32_e32 v98, 16, v42
	;; [unrolled: 1-line block ×3, first 2 shown]
	v_fmac_f16_e32 v97, v112, v48
	v_fma_f16 v48, v112, v103, -v104
	v_fma_f16 v84, v112, v84, -v99
	v_fma_f16 v45, v45, 2.0, -v88
	v_fma_f16 v86, v86, 2.0, -v89
	v_sub_f16_e32 v99, v43, v40
	v_sub_f16_e32 v91, v92, v91
	v_fma_f16 v46, v46, 2.0, -v102
	v_fma_f16 v90, v90, 2.0, -v51
	v_sub_f16_e32 v52, v44, v52
	v_sub_f16_e32 v49, v94, v49
	;; [unrolled: 1-line block ×8, first 2 shown]
	v_fma_f16 v43, v43, 2.0, -v99
	v_fma_f16 v92, v92, 2.0, -v91
	v_sub_f16_e32 v40, v85, v47
	v_pack_b32_f16 v45, v45, v86
	v_pack_b32_f16 v47, v88, v89
	v_fma_f16 v44, v44, 2.0, -v52
	v_fma_f16 v94, v94, 2.0, -v49
	v_pack_b32_f16 v46, v46, v90
	v_pack_b32_f16 v51, v102, v51
	v_fma_f16 v41, v41, 2.0, -v103
	v_fma_f16 v96, v96, 2.0, -v93
	;; [unrolled: 1-line block ×6, first 2 shown]
	v_sub_f16_e32 v84, v87, v84
	global_wb scope:SCOPE_SE
	s_barrier_signal -1
	s_barrier_wait -1
	global_inv scope:SCOPE_SE
	ds_store_2addr_b32 v119, v45, v47 offset1:8
	ds_store_2addr_b32 v120, v46, v51 offset1:8
	v_pack_b32_f16 v43, v43, v92
	v_pack_b32_f16 v45, v99, v91
	;; [unrolled: 1-line block ×10, first 2 shown]
	ds_store_2addr_b32 v114, v43, v45 offset1:8
	ds_store_2addr_b32 v115, v44, v46 offset1:8
	ds_store_2addr_b32 v116, v41, v47 offset1:8
	ds_store_2addr_b32 v117, v42, v49 offset1:8
	ds_store_2addr_b32 v118, v39, v48 offset1:8
	s_and_saveexec_b32 s1, vcc_lo
	s_cbranch_execz .LBB0_41
; %bb.40:
	v_fma_f16 v39, v85, 2.0, -v40
	v_and_or_b32 v41, 0x6f0, v53, v101
	v_fma_f16 v42, v87, 2.0, -v84
	s_delay_alu instid0(VALU_DEP_2) | instskip(NEXT) | instid1(VALU_DEP_2)
	v_lshlrev_b32_e32 v41, 2, v41
	v_pack_b32_f16 v39, v39, v42
	v_perm_b32 v42, v84, v40, 0x5040100
	ds_store_2addr_b32 v41, v39, v42 offset1:8
.LBB0_41:
	s_wait_alu 0xfffe
	s_or_b32 exec_lo, exec_lo, s1
	v_add_nc_u32_e32 v39, 0x600, v54
	v_add_nc_u32_e32 v45, 0x1000, v54
	global_wb scope:SCOPE_SE
	s_wait_dscnt 0x0
	s_barrier_signal -1
	s_barrier_wait -1
	global_inv scope:SCOPE_SE
	v_add_nc_u32_e32 v88, 0xa00, v54
	ds_load_2addr_b32 v[41:42], v39 offset0:64 offset1:176
	ds_load_2addr_b32 v[45:46], v45 offset0:96 offset1:208
	v_add_nc_u32_e32 v53, 0x200, v54
	v_add_nc_u32_e32 v51, 0x1400, v54
	ds_load_2addr_b32 v[47:48], v88 offset0:32 offset1:144
	v_add_nc_u32_e32 v85, 0xc00, v54
	ds_load_2addr_b32 v[43:44], v54 offset1:112
	ds_load_2addr_b32 v[49:50], v53 offset0:96 offset1:208
	ds_load_2addr_b32 v[51:52], v51 offset0:64 offset1:176
	;; [unrolled: 1-line block ×3, first 2 shown]
	ds_load_b32 v89, v54 offset:6272
	global_wb scope:SCOPE_SE
	s_wait_dscnt 0x0
	s_barrier_signal -1
	s_barrier_wait -1
	global_inv scope:SCOPE_SE
	v_lshrrev_b32_e32 v92, 16, v42
	v_lshrrev_b32_e32 v93, 16, v45
	v_mul_f16_e64 v104, v129, v42
	v_lshrrev_b32_e32 v95, 16, v46
	v_lshrrev_b32_e32 v94, 16, v47
	v_mul_f16_e64 v102, v129, v92
	v_mul_f16_e64 v106, v128, v93
	v_fma_f16 v92, v29, v92, -v104
	v_lshrrev_b32_e32 v97, 16, v48
	v_mul_f16_e64 v104, v129, v94
	v_fmac_f16_e32 v102, v29, v42
	v_mul_f16_e64 v42, v128, v45
	v_fmac_f16_e32 v106, v30, v45
	v_mul_f16_e64 v45, v129, v47
	v_lshrrev_b32_e32 v98, 16, v51
	v_fmac_f16_e32 v104, v29, v47
	v_fma_f16 v42, v30, v93, -v42
	v_mul_f16_e64 v93, v128, v95
	v_mul_f16_e64 v47, v128, v46
	v_fma_f16 v45, v29, v94, -v45
	v_mul_f16_e64 v94, v129, v97
	v_lshrrev_b32_e32 v100, 16, v86
	v_fmac_f16_e32 v93, v30, v46
	v_mul_f16_e64 v46, v129, v48
	v_fma_f16 v47, v30, v95, -v47
	v_mul_f16_e64 v95, v128, v98
	v_lshrrev_b32_e32 v101, 16, v52
	v_fmac_f16_e32 v94, v29, v48
	v_mul_f16_e64 v48, v128, v51
	v_lshrrev_b32_e32 v103, 16, v87
	v_fma_f16 v46, v29, v97, -v46
	v_mul_f16_e64 v97, v129, v100
	v_fmac_f16_e32 v95, v30, v51
	v_mul_f16_e64 v51, v129, v86
	v_fma_f16 v48, v30, v98, -v48
	v_mul_f16_e64 v98, v128, v101
	v_lshrrev_b32_e32 v105, 16, v89
	v_fmac_f16_e32 v97, v29, v86
	v_mul_f16_e64 v86, v128, v52
	v_fma_f16 v51, v29, v100, -v51
	v_mul_f16_e64 v100, v129, v103
	v_fmac_f16_e32 v98, v30, v52
	v_mul_f16_e64 v52, v129, v87
	v_fma_f16 v86, v30, v101, -v86
	v_mul_f16_e64 v101, v128, v105
	v_fmac_f16_e32 v100, v29, v87
	v_mul_f16_e64 v87, v128, v89
	v_fma_f16 v29, v29, v103, -v52
	v_add_f16_e32 v52, v102, v106
	v_lshrrev_b32_e32 v90, 16, v43
	v_fmac_f16_e32 v101, v30, v89
	v_fma_f16 v30, v30, v105, -v87
	v_add_f16_e32 v87, v92, v42
	v_add_f16_e32 v89, v43, v102
	v_fma_f16 v43, -0.5, v52, v43
	v_sub_f16_e32 v52, v92, v42
	v_add_f16_e32 v92, v90, v92
	v_fmac_f16_e32 v90, -0.5, v87
	v_sub_f16_e32 v87, v102, v106
	v_lshrrev_b32_e32 v91, 16, v44
	v_fmamk_f16 v102, v52, 0xbaee, v43
	v_fmac_f16_e32 v43, 0x3aee, v52
	v_add_f16_e32 v52, v104, v93
	v_add_f16_e32 v42, v92, v42
	v_fmamk_f16 v92, v87, 0x3aee, v90
	v_fmac_f16_e32 v90, 0xbaee, v87
	v_add_f16_e32 v87, v45, v47
	v_add_f16_e32 v103, v44, v104
	v_fmac_f16_e32 v44, -0.5, v52
	v_sub_f16_e32 v52, v45, v47
	v_add_f16_e32 v45, v91, v45
	v_fmac_f16_e32 v91, -0.5, v87
	v_sub_f16_e32 v87, v104, v93
	v_lshrrev_b32_e32 v96, 16, v49
	v_add_f16_e32 v103, v103, v93
	v_add_f16_e32 v45, v45, v47
	;; [unrolled: 1-line block ×3, first 2 shown]
	v_fmamk_f16 v93, v52, 0xbaee, v44
	v_fmac_f16_e32 v44, 0x3aee, v52
	v_fmamk_f16 v52, v87, 0x3aee, v91
	v_fmac_f16_e32 v91, 0xbaee, v87
	v_add_f16_e32 v87, v46, v48
	v_add_f16_e32 v104, v49, v94
	v_fma_f16 v47, -0.5, v47, v49
	v_sub_f16_e32 v49, v46, v48
	v_add_f16_e32 v46, v96, v46
	v_fmac_f16_e32 v96, -0.5, v87
	v_sub_f16_e32 v87, v94, v95
	v_lshrrev_b32_e32 v99, 16, v50
	v_fmamk_f16 v94, v49, 0xbaee, v47
	v_add_f16_e32 v46, v46, v48
	v_add_f16_e32 v48, v97, v98
	v_fmac_f16_e32 v47, 0x3aee, v49
	v_fmamk_f16 v49, v87, 0x3aee, v96
	v_fmac_f16_e32 v96, 0xbaee, v87
	v_add_f16_e32 v87, v51, v86
	v_add_f16_e32 v104, v104, v95
	;; [unrolled: 1-line block ×3, first 2 shown]
	v_fmac_f16_e32 v50, -0.5, v48
	v_sub_f16_e32 v48, v51, v86
	v_add_f16_e32 v51, v99, v51
	v_fmac_f16_e32 v99, -0.5, v87
	v_sub_f16_e32 v87, v97, v98
	v_lshrrev_b32_e32 v85, 16, v41
	v_fmamk_f16 v97, v48, 0xbaee, v50
	v_fmac_f16_e32 v50, 0x3aee, v48
	v_add_f16_e32 v48, v51, v86
	v_add_f16_e32 v51, v100, v101
	v_fmamk_f16 v86, v87, 0x3aee, v99
	v_fmac_f16_e32 v99, 0xbaee, v87
	v_add_f16_e32 v87, v29, v30
	v_add_f16_e32 v89, v89, v106
	v_add_f16_e32 v95, v95, v98
	v_add_f16_e32 v98, v41, v100
	v_fmac_f16_e32 v41, -0.5, v51
	v_sub_f16_e32 v51, v29, v30
	v_add_f16_e32 v29, v85, v29
	v_fmac_f16_e32 v85, -0.5, v87
	v_sub_f16_e32 v87, v100, v101
	v_pack_b32_f16 v42, v89, v42
	v_fmamk_f16 v100, v51, 0xbaee, v41
	v_fmac_f16_e32 v41, 0x3aee, v51
	v_pack_b32_f16 v51, v102, v92
	v_pack_b32_f16 v43, v43, v90
	;; [unrolled: 1-line block ×4, first 2 shown]
	v_add_f16_e32 v98, v98, v101
	v_add_f16_e32 v29, v29, v30
	v_fmamk_f16 v30, v87, 0x3aee, v85
	v_pack_b32_f16 v44, v44, v91
	v_fmac_f16_e32 v85, 0xbaee, v87
	v_pack_b32_f16 v46, v104, v46
	v_pack_b32_f16 v49, v94, v49
	ds_store_2addr_b32 v126, v42, v51 offset1:16
	ds_store_b32 v126, v43 offset:128
	ds_store_2addr_b32 v125, v45, v52 offset1:16
	ds_store_b32 v125, v44 offset:128
	ds_store_2addr_b32 v123, v46, v49 offset1:16
	v_pack_b32_f16 v42, v47, v96
	v_pack_b32_f16 v43, v95, v48
	;; [unrolled: 1-line block ×7, first 2 shown]
	ds_store_b32 v123, v42 offset:128
	ds_store_2addr_b32 v122, v43, v44 offset1:16
	ds_store_b32 v122, v45 offset:128
	ds_store_2addr_b32 v121, v29, v30 offset1:16
	ds_store_b32 v121, v46 offset:128
	v_add_nc_u32_e32 v42, 0xe00, v54
	v_add_nc_u32_e32 v43, 0x1200, v54
	;; [unrolled: 1-line block ×3, first 2 shown]
	global_wb scope:SCOPE_SE
	s_wait_dscnt 0x0
	s_barrier_signal -1
	s_barrier_wait -1
	global_inv scope:SCOPE_SE
	ds_load_2addr_b32 v[29:30], v54 offset1:112
	ds_load_2addr_b32 v[52:53], v53 offset0:112 offset1:224
	ds_load_2addr_b32 v[50:51], v39 offset0:96 offset1:208
	;; [unrolled: 1-line block ×6, first 2 shown]
	s_and_saveexec_b32 s1, s0
	s_cbranch_execz .LBB0_43
; %bb.42:
	v_add_nc_u32_e32 v35, 0x380, v54
	v_add_nc_u32_e32 v36, 0xb00, v54
	v_add_nc_u32_e32 v37, 0x1280, v54
	ds_load_b32 v166, v54 offset:6656
	ds_load_2addr_b32 v[39:40], v35 offset1:240
	ds_load_2addr_b32 v[35:36], v36 offset1:240
	;; [unrolled: 1-line block ×3, first 2 shown]
	s_wait_dscnt 0x3
	v_lshrrev_b32_e32 v167, 16, v166
	s_wait_dscnt 0x2
	v_mov_b32_e32 v41, v39
	v_lshrrev_b32_e32 v85, 16, v39
	v_lshrrev_b32_e32 v84, 16, v40
	s_wait_dscnt 0x1
	v_lshrrev_b32_e32 v163, 16, v35
	v_lshrrev_b32_e32 v162, 16, v36
	s_wait_dscnt 0x0
	v_lshrrev_b32_e32 v164, 16, v37
	v_lshrrev_b32_e32 v165, 16, v38
.LBB0_43:
	s_wait_alu 0xfffe
	s_or_b32 exec_lo, exec_lo, s1
	s_wait_dscnt 0x5
	v_lshrrev_b32_e32 v86, 16, v52
	s_wait_dscnt 0x4
	v_lshrrev_b32_e32 v87, 16, v50
	;; [unrolled: 2-line block ×5, first 2 shown]
	v_mul_f16_e64 v98, v161, v86
	v_mul_f16_e64 v99, v161, v52
	;; [unrolled: 1-line block ×4, first 2 shown]
	s_wait_dscnt 0x0
	v_lshrrev_b32_e32 v91, 16, v42
	v_lshrrev_b32_e32 v93, 16, v53
	v_fmac_f16_e32 v98, v8, v52
	v_fma_f16 v8, v8, v86, -v99
	v_fmac_f16_e32 v100, v9, v50
	v_fma_f16 v9, v9, v87, -v101
	v_mul_f16_e64 v50, v159, v88
	v_mul_f16_e64 v52, v159, v48
	;; [unrolled: 1-line block ×5, first 2 shown]
	v_lshrrev_b32_e32 v94, 16, v51
	v_lshrrev_b32_e32 v96, 16, v47
	v_fmac_f16_e32 v50, v10, v48
	v_fma_f16 v10, v10, v88, -v52
	v_fmac_f16_e32 v86, v11, v46
	v_fma_f16 v11, v11, v89, -v87
	v_fmac_f16_e32 v99, v33, v44
	v_mul_f16_e64 v44, v157, v44
	v_mul_f16_e64 v46, v156, v91
	;; [unrolled: 1-line block ×4, first 2 shown]
	v_lshrrev_b32_e32 v95, 16, v49
	v_lshrrev_b32_e32 v97, 16, v45
	;; [unrolled: 1-line block ×3, first 2 shown]
	v_mul_f16_e64 v48, v156, v42
	v_fma_f16 v33, v33, v90, -v44
	v_fmac_f16_e32 v46, v34, v42
	v_fmac_f16_e32 v52, v4, v53
	v_fma_f16 v4, v4, v93, -v87
	v_mul_f16_e64 v42, v154, v94
	v_mul_f16_e64 v44, v154, v51
	;; [unrolled: 1-line block ×3, first 2 shown]
	v_fma_f16 v34, v34, v91, -v48
	v_mul_f16_e64 v48, v153, v95
	v_mul_f16_e64 v53, v153, v49
	v_fmac_f16_e32 v42, v5, v51
	v_fma_f16 v5, v5, v94, -v44
	v_fmac_f16_e32 v87, v7, v47
	v_mul_f16_e64 v44, v152, v47
	v_mul_f16_e64 v47, v151, v97
	;; [unrolled: 1-line block ×3, first 2 shown]
	v_fmac_f16_e32 v48, v6, v49
	v_fma_f16 v6, v6, v95, -v53
	v_mul_f16_e64 v49, v151, v45
	v_mul_f16_e64 v53, v150, v43
	v_fma_f16 v7, v7, v96, -v44
	v_fmac_f16_e32 v47, v31, v45
	v_fmac_f16_e32 v51, v32, v43
	v_add_f16_e32 v43, v98, v46
	v_add_f16_e32 v44, v8, v34
	v_sub_f16_e32 v45, v98, v46
	v_sub_f16_e32 v8, v8, v34
	v_add_f16_e32 v34, v100, v99
	v_add_f16_e32 v46, v9, v33
	v_fma_f16 v31, v31, v97, -v49
	v_fma_f16 v32, v32, v102, -v53
	v_sub_f16_e32 v49, v100, v99
	v_sub_f16_e32 v9, v9, v33
	v_add_f16_e32 v33, v50, v86
	v_add_f16_e32 v53, v10, v11
	v_sub_f16_e32 v50, v86, v50
	v_sub_f16_e32 v10, v11, v10
	v_add_f16_e32 v11, v34, v43
	v_add_f16_e32 v86, v46, v44
	v_lshrrev_b32_e32 v39, 16, v29
	v_sub_f16_e32 v88, v34, v43
	v_sub_f16_e32 v89, v46, v44
	;; [unrolled: 1-line block ×6, first 2 shown]
	v_add_f16_e32 v90, v50, v49
	v_add_f16_e32 v91, v10, v9
	v_sub_f16_e32 v93, v50, v49
	v_sub_f16_e32 v94, v10, v9
	;; [unrolled: 1-line block ×3, first 2 shown]
	v_add_f16_e32 v11, v33, v11
	v_add_f16_e32 v33, v53, v86
	v_sub_f16_e32 v9, v9, v8
	v_sub_f16_e32 v50, v45, v50
	;; [unrolled: 1-line block ×3, first 2 shown]
	v_add_f16_e32 v45, v90, v45
	v_add_f16_e32 v8, v91, v8
	;; [unrolled: 1-line block ×4, first 2 shown]
	v_mul_f16_e32 v43, 0x3a52, v43
	v_mul_f16_e32 v44, 0x3a52, v44
	;; [unrolled: 1-line block ×8, first 2 shown]
	v_fmamk_f16 v11, v11, 0xbcab, v29
	v_fmamk_f16 v33, v33, 0xbcab, v39
	;; [unrolled: 1-line block ×4, first 2 shown]
	v_fma_f16 v53, v88, 0x39e0, -v53
	v_fma_f16 v86, v89, 0x39e0, -v86
	;; [unrolled: 1-line block ×4, first 2 shown]
	v_fmamk_f16 v88, v50, 0xb574, v90
	v_fmamk_f16 v89, v10, 0xb574, v91
	v_fma_f16 v50, v50, 0x3574, -v93
	v_fma_f16 v10, v10, 0x3574, -v94
	;; [unrolled: 1-line block ×4, first 2 shown]
	v_add_f16_e32 v34, v34, v11
	v_add_f16_e32 v46, v46, v33
	;; [unrolled: 1-line block ×6, first 2 shown]
	v_fmac_f16_e32 v88, 0xb70e, v45
	v_fmac_f16_e32 v89, 0xb70e, v8
	;; [unrolled: 1-line block ×6, first 2 shown]
	v_add_f16_e32 v8, v89, v34
	v_sub_f16_e32 v43, v46, v88
	v_add_f16_e32 v44, v10, v11
	v_sub_f16_e32 v45, v33, v50
	v_sub_f16_e32 v10, v11, v10
	v_add_f16_e32 v11, v50, v33
	v_sub_f16_e32 v33, v34, v89
	v_add_f16_e32 v34, v88, v46
	v_add_f16_e32 v46, v52, v51
	;; [unrolled: 1-line block ×3, first 2 shown]
	v_sub_f16_e32 v51, v52, v51
	v_sub_f16_e32 v4, v4, v32
	v_add_f16_e32 v32, v42, v47
	v_add_f16_e32 v52, v5, v31
	v_sub_f16_e32 v90, v53, v9
	v_add_f16_e32 v9, v9, v53
	v_sub_f16_e32 v42, v42, v47
	v_sub_f16_e32 v5, v5, v31
	v_add_f16_e32 v31, v48, v87
	v_add_f16_e32 v47, v6, v7
	v_sub_f16_e32 v48, v87, v48
	v_sub_f16_e32 v6, v7, v6
	v_add_f16_e32 v7, v32, v46
	v_add_f16_e32 v53, v52, v50
	v_lshrrev_b32_e32 v92, 16, v30
	v_add_f16_e32 v91, v49, v86
	v_sub_f16_e32 v49, v86, v49
	v_sub_f16_e32 v86, v32, v46
	;; [unrolled: 1-line block ×7, first 2 shown]
	v_add_f16_e32 v88, v48, v42
	v_add_f16_e32 v89, v6, v5
	v_sub_f16_e32 v93, v48, v42
	v_sub_f16_e32 v94, v6, v5
	v_add_f16_e32 v7, v31, v7
	v_add_f16_e32 v31, v47, v53
	v_sub_f16_e32 v42, v42, v51
	v_sub_f16_e32 v5, v5, v4
	;; [unrolled: 1-line block ×4, first 2 shown]
	v_add_f16_e32 v47, v88, v51
	v_add_f16_e32 v4, v89, v4
	v_add_f16_e32 v30, v30, v7
	v_add_f16_e32 v51, v92, v31
	v_mul_f16_e32 v46, 0x3a52, v46
	v_mul_f16_e32 v50, 0x3a52, v50
	;; [unrolled: 1-line block ×8, first 2 shown]
	v_fmamk_f16 v7, v7, 0xbcab, v30
	v_fmamk_f16 v31, v31, 0xbcab, v51
	;; [unrolled: 1-line block ×4, first 2 shown]
	v_fma_f16 v53, v86, 0x39e0, -v53
	v_fma_f16 v88, v87, 0x39e0, -v88
	;; [unrolled: 1-line block ×4, first 2 shown]
	v_fmamk_f16 v86, v48, 0xb574, v89
	v_fmamk_f16 v87, v6, 0xb574, v92
	v_fma_f16 v42, v42, 0xbb00, -v89
	v_fma_f16 v5, v5, 0xbb00, -v92
	;; [unrolled: 1-line block ×4, first 2 shown]
	v_add_f16_e32 v32, v32, v7
	v_add_f16_e32 v52, v52, v31
	v_fmac_f16_e32 v86, 0xb70e, v47
	v_fmac_f16_e32 v87, 0xb70e, v4
	v_add_f16_e32 v53, v53, v7
	v_add_f16_e32 v88, v88, v31
	;; [unrolled: 1-line block ×4, first 2 shown]
	v_fmac_f16_e32 v42, 0xb70e, v47
	v_fmac_f16_e32 v6, 0xb70e, v4
	v_fmac_f16_e32 v48, 0xb70e, v47
	v_fmac_f16_e32 v5, 0xb70e, v4
	v_pack_b32_f16 v29, v29, v39
	v_pack_b32_f16 v8, v8, v43
	v_add_f16_e32 v4, v87, v32
	v_sub_f16_e32 v46, v52, v86
	v_pack_b32_f16 v39, v44, v45
	v_pack_b32_f16 v43, v90, v91
	v_add_f16_e32 v47, v6, v7
	v_sub_f16_e32 v50, v31, v48
	v_sub_f16_e32 v89, v53, v5
	v_add_f16_e32 v92, v42, v88
	v_pack_b32_f16 v9, v9, v49
	v_pack_b32_f16 v10, v10, v11
	v_add_f16_e32 v5, v5, v53
	v_sub_f16_e32 v42, v88, v42
	v_sub_f16_e32 v6, v7, v6
	v_add_f16_e32 v7, v48, v31
	v_sub_f16_e32 v31, v32, v87
	v_add_f16_e32 v32, v86, v52
	global_wb scope:SCOPE_SE
	s_barrier_signal -1
	s_barrier_wait -1
	global_inv scope:SCOPE_SE
	ds_store_2addr_b32 v137, v29, v8 offset1:48
	ds_store_2addr_b32 v137, v39, v43 offset0:96 offset1:144
	ds_store_2addr_b32 v137, v9, v10 offset0:192 offset1:240
	v_pack_b32_f16 v8, v33, v34
	v_pack_b32_f16 v9, v30, v51
	;; [unrolled: 1-line block ×8, first 2 shown]
	ds_store_b32 v137, v8 offset:1152
	ds_store_2addr_b32 v136, v9, v4 offset1:48
	ds_store_2addr_b32 v136, v10, v11 offset0:96 offset1:144
	ds_store_2addr_b32 v136, v5, v6 offset0:192 offset1:240
	ds_store_b32 v136, v7 offset:1152
	s_and_saveexec_b32 s1, s0
	s_cbranch_execz .LBB0_45
; %bb.44:
	v_mul_f16_e64 v4, v134, v84
	v_mul_f16_e64 v7, v132, v163
	;; [unrolled: 1-line block ×10, first 2 shown]
	v_fmac_f16_e32 v7, v1, v35
	v_fmac_f16_e32 v8, v27, v38
	;; [unrolled: 1-line block ×3, first 2 shown]
	v_fmac_f16_e64 v9, v28, v166
	v_fma_f16 v28, v28, v167, -v29
	v_fma_f16 v0, v0, v84, -v32
	v_mul_f16_e64 v32, v130, v36
	v_mul_f16_e64 v35, v131, v37
	v_fma_f16 v27, v27, v165, -v33
	v_fma_f16 v1, v1, v163, -v34
	v_fmac_f16_e32 v5, v3, v37
	v_fmac_f16_e32 v6, v2, v36
	v_add_f16_e32 v33, v28, v0
	v_fma_f16 v2, v2, v162, -v32
	v_fma_f16 v3, v3, v164, -v35
	v_add_f16_e32 v32, v27, v1
	v_sub_f16_e32 v11, v7, v8
	v_sub_f16_e32 v30, v4, v9
	v_add_f16_e32 v4, v9, v4
	v_add_f16_e32 v35, v2, v3
	;; [unrolled: 1-line block ×4, first 2 shown]
	v_sub_f16_e32 v10, v5, v6
	v_add_f16_e32 v5, v6, v5
	v_sub_f16_e32 v37, v33, v35
	v_add_f16_e32 v36, v35, v36
	v_sub_f16_e32 v8, v35, v32
	v_add_f16_e32 v35, v7, v4
	v_sub_f16_e32 v38, v4, v5
	v_sub_f16_e32 v2, v3, v2
	;; [unrolled: 1-line block ×4, first 2 shown]
	v_add_f16_e32 v35, v5, v35
	v_sub_f16_e32 v31, v10, v11
	v_sub_f16_e32 v29, v30, v10
	v_add_f16_e32 v10, v10, v11
	v_mul_f16_e32 v3, 0x3a52, v38
	v_sub_f16_e32 v5, v5, v7
	v_add_f16_e32 v27, v41, v35
	v_sub_f16_e32 v28, v2, v1
	v_sub_f16_e32 v11, v11, v30
	v_mul_f16_e32 v9, 0x3a52, v37
	v_sub_f16_e32 v39, v0, v2
	v_add_f16_e32 v2, v2, v1
	v_sub_f16_e32 v32, v32, v33
	v_sub_f16_e32 v1, v1, v0
	v_mul_f16_e32 v31, 0x3846, v31
	v_add_f16_e32 v6, v85, v36
	v_mul_f16_e32 v37, 0x2b26, v8
	v_fmamk_f16 v38, v5, 0x2b26, v3
	v_fmamk_f16 v35, v35, 0xbcab, v27
	v_mul_f16_e32 v28, 0x3846, v28
	v_mul_f16_e32 v41, 0xbb00, v11
	v_fmamk_f16 v8, v8, 0x2b26, v9
	v_mul_f16_e32 v5, 0x2b26, v5
	v_sub_f16_e32 v4, v7, v4
	v_fma_f16 v7, v32, 0xb9e0, -v9
	v_mul_f16_e32 v9, 0xbb00, v1
	v_fmamk_f16 v34, v29, 0xb574, v31
	v_add_f16_e32 v10, v10, v30
	v_fmamk_f16 v36, v36, 0xbcab, v6
	v_add_f16_e32 v30, v38, v35
	;; [unrolled: 2-line block ×3, first 2 shown]
	v_fma_f16 v2, v29, 0x3574, -v41
	v_fma_f16 v29, v32, 0x39e0, -v37
	;; [unrolled: 1-line block ×7, first 2 shown]
	v_fmac_f16_e32 v34, 0xb70e, v10
	v_add_f16_e32 v8, v8, v36
	v_fmac_f16_e32 v38, 0xb70e, v0
	v_fmac_f16_e32 v2, 0xb70e, v10
	v_add_f16_e32 v7, v7, v36
	v_add_f16_e32 v5, v29, v36
	v_fmac_f16_e32 v11, 0xb70e, v10
	v_add_f16_e32 v3, v3, v35
	v_fmac_f16_e32 v9, 0xb70e, v0
	v_fmac_f16_e32 v1, 0xb70e, v0
	v_add_f16_e32 v0, v4, v35
	v_add_f16_e32 v40, v34, v8
	;; [unrolled: 1-line block ×3, first 2 shown]
	v_sub_f16_e32 v29, v5, v11
	v_add_f16_e32 v5, v11, v5
	v_sub_f16_e32 v2, v7, v2
	v_sub_f16_e32 v7, v8, v34
	v_add_f16_e32 v8, v38, v30
	v_lshlrev_b32_e32 v11, 2, v127
	v_sub_f16_e32 v28, v3, v9
	v_add_f16_e32 v31, v1, v0
	v_add_f16_e32 v3, v9, v3
	v_sub_f16_e32 v0, v0, v1
	v_sub_f16_e32 v4, v30, v38
	v_pack_b32_f16 v1, v27, v6
	v_pack_b32_f16 v6, v8, v7
	v_add_nc_u32_e32 v7, 0x1400, v11
	v_pack_b32_f16 v2, v3, v2
	v_pack_b32_f16 v0, v0, v5
	;; [unrolled: 1-line block ×4, first 2 shown]
	v_add_nc_u32_e32 v8, 0x1800, v11
	v_pack_b32_f16 v4, v4, v40
	ds_store_2addr_b32 v7, v1, v6 offset0:64 offset1:112
	ds_store_2addr_b32 v7, v2, v0 offset0:160 offset1:208
	ds_store_2addr_b32 v8, v3, v5 offset1:48
	ds_store_b32 v11, v4 offset:6528
.LBB0_45:
	s_wait_alu 0xfffe
	s_or_b32 exec_lo, exec_lo, s1
	v_add_nc_u32_e32 v4, 0x200, v54
	v_add_nc_u32_e32 v0, 0xa00, v54
	;; [unrolled: 1-line block ×3, first 2 shown]
	global_wb scope:SCOPE_SE
	s_wait_dscnt 0x0
	s_barrier_signal -1
	s_barrier_wait -1
	global_inv scope:SCOPE_SE
	ds_load_2addr_b32 v[7:8], v4 offset0:96 offset1:208
	v_add_nc_u32_e32 v2, 0x1400, v54
	ds_load_2addr_b32 v[9:10], v0 offset0:32 offset1:144
	v_add_nc_u32_e32 v3, 0x600, v54
	v_add_nc_u32_e32 v11, 0x1000, v54
	ds_load_2addr_b32 v[5:6], v54 offset1:112
	ds_load_2addr_b32 v[27:28], v1 offset0:128 offset1:240
	ds_load_2addr_b32 v[29:30], v2 offset0:64 offset1:176
	;; [unrolled: 1-line block ×4, first 2 shown]
	ds_load_b32 v1, v54 offset:6272
	s_mov_b32 s10, 0x13813814
	s_mov_b32 s11, 0x3f438138
	s_wait_dscnt 0x7
	v_lshrrev_b32_e32 v36, 16, v8
	v_mul_f16_e64 v50, v149, v8
	s_wait_dscnt 0x6
	v_lshrrev_b32_e32 v37, 16, v9
	s_wait_dscnt 0x4
	v_lshrrev_b32_e32 v38, 16, v28
	s_wait_dscnt 0x3
	v_lshrrev_b32_e32 v39, 16, v29
	s_wait_dscnt 0x2
	v_lshrrev_b32_e32 v40, 16, v31
	v_mul_f16_e64 v49, v149, v36
	v_mul_f16_e64 v51, v148, v37
	;; [unrolled: 1-line block ×4, first 2 shown]
	v_lshrrev_b32_e32 v41, 16, v10
	s_wait_dscnt 0x1
	v_lshrrev_b32_e32 v42, 16, v33
	v_fmac_f16_e32 v49, v20, v8
	v_fma_f16 v8, v20, v36, -v50
	v_fmac_f16_e32 v51, v21, v9
	v_fma_f16 v9, v21, v37, -v52
	v_fmac_f16_e32 v53, v22, v28
	v_mul_f16_e64 v20, v147, v28
	v_mul_f16_e64 v21, v146, v39
	;; [unrolled: 1-line block ×4, first 2 shown]
	v_lshrrev_b32_e32 v43, 16, v30
	v_mul_f16_e64 v37, v145, v31
	v_fma_f16 v20, v22, v38, -v20
	v_fmac_f16_e32 v21, v23, v29
	v_fma_f16 v22, v23, v39, -v28
	v_fmac_f16_e32 v36, v16, v31
	v_mul_f16_e64 v23, v144, v41
	v_mul_f16_e64 v28, v144, v10
	;; [unrolled: 1-line block ×4, first 2 shown]
	v_lshrrev_b32_e32 v45, 16, v32
	v_lshrrev_b32_e32 v46, 16, v27
	v_fma_f16 v16, v16, v40, -v37
	v_mul_f16_e64 v37, v142, v43
	v_fmac_f16_e32 v23, v17, v10
	v_fma_f16 v10, v17, v41, -v28
	v_fmac_f16_e32 v29, v18, v33
	v_fma_f16 v17, v18, v42, -v31
	v_mul_f16_e64 v18, v142, v30
	v_lshrrev_b32_e32 v47, 16, v34
	v_fmac_f16_e32 v37, v19, v30
	v_mul_f16_e64 v28, v141, v45
	v_mul_f16_e64 v30, v141, v32
	;; [unrolled: 1-line block ×4, first 2 shown]
	v_fma_f16 v18, v19, v43, -v18
	v_add_f16_e32 v19, v51, v53
	s_wait_dscnt 0x0
	v_lshrrev_b32_e32 v48, 16, v1
	v_fmac_f16_e32 v28, v12, v32
	v_fma_f16 v12, v12, v45, -v30
	v_fmac_f16_e32 v31, v13, v27
	v_fma_f16 v13, v13, v46, -v33
	v_mul_f16_e64 v27, v139, v47
	v_mul_f16_e64 v30, v139, v34
	v_add_f16_e32 v33, v5, v49
	v_fma_f16 v19, -0.5, v19, v5
	v_sub_f16_e32 v38, v8, v22
	v_lshrrev_b32_e32 v11, 16, v5
	v_mul_f16_e64 v32, v138, v48
	v_fmac_f16_e32 v27, v14, v34
	v_fma_f16 v14, v14, v47, -v30
	v_add_f16_e32 v30, v33, v51
	v_fmamk_f16 v33, v38, 0xbb9c, v19
	v_sub_f16_e32 v34, v9, v20
	v_sub_f16_e32 v39, v49, v51
	;; [unrolled: 1-line block ×3, first 2 shown]
	v_add_f16_e32 v41, v49, v21
	v_fmac_f16_e32 v19, 0x3b9c, v38
	v_fmac_f16_e32 v32, v15, v1
	v_mul_f16_e64 v1, v138, v1
	v_add_f16_e32 v30, v30, v53
	v_fmac_f16_e32 v33, 0xb8b4, v34
	v_add_f16_e32 v39, v39, v40
	v_fma_f16 v5, -0.5, v41, v5
	v_sub_f16_e32 v40, v51, v49
	v_sub_f16_e32 v41, v53, v21
	v_fmac_f16_e32 v19, 0x38b4, v34
	v_add_f16_e32 v42, v11, v8
	v_add_f16_e32 v43, v9, v20
	v_fma_f16 v1, v15, v48, -v1
	v_add_f16_e32 v15, v30, v21
	v_fmac_f16_e32 v33, 0x34f2, v39
	v_fmamk_f16 v30, v34, 0x3b9c, v5
	v_add_f16_e32 v40, v40, v41
	v_fmac_f16_e32 v5, 0xbb9c, v34
	v_add_f16_e32 v34, v42, v9
	v_fma_f16 v41, -0.5, v43, v11
	v_sub_f16_e32 v21, v49, v21
	v_fmac_f16_e32 v19, 0x34f2, v39
	v_add_f16_e32 v39, v8, v22
	v_sub_f16_e32 v43, v8, v9
	v_sub_f16_e32 v8, v9, v8
	;; [unrolled: 1-line block ×3, first 2 shown]
	v_fmac_f16_e32 v30, 0xb8b4, v38
	v_fmac_f16_e32 v5, 0x38b4, v38
	v_add_f16_e32 v34, v34, v20
	v_fmamk_f16 v38, v21, 0x3b9c, v41
	v_sub_f16_e32 v42, v51, v53
	v_sub_f16_e32 v45, v22, v20
	v_fmac_f16_e32 v11, -0.5, v39
	v_fmac_f16_e32 v41, 0xbb9c, v21
	v_add_f16_e32 v20, v23, v29
	v_add_f16_e32 v8, v8, v9
	;; [unrolled: 1-line block ×3, first 2 shown]
	v_lshrrev_b32_e32 v35, 16, v6
	v_fmac_f16_e32 v30, 0x34f2, v40
	v_fmac_f16_e32 v5, 0x34f2, v40
	v_add_f16_e32 v34, v34, v22
	v_fmac_f16_e32 v38, 0x38b4, v42
	v_add_f16_e32 v39, v43, v45
	v_fmamk_f16 v40, v42, 0xbb9c, v11
	v_fmac_f16_e32 v41, 0xb8b4, v42
	v_fma_f16 v20, -0.5, v20, v6
	v_sub_f16_e32 v22, v16, v18
	v_fmac_f16_e32 v11, 0x3b9c, v42
	v_add_f16_e32 v9, v9, v23
	v_sub_f16_e32 v43, v36, v23
	v_sub_f16_e32 v45, v37, v29
	v_add_f16_e32 v46, v36, v37
	v_fmac_f16_e32 v38, 0x34f2, v39
	v_fmac_f16_e32 v40, 0x38b4, v21
	;; [unrolled: 1-line block ×3, first 2 shown]
	v_fmamk_f16 v39, v22, 0xbb9c, v20
	v_sub_f16_e32 v42, v10, v17
	v_fmac_f16_e32 v11, 0xb8b4, v21
	v_add_f16_e32 v9, v9, v29
	v_add_f16_e32 v21, v43, v45
	v_fmac_f16_e32 v6, -0.5, v46
	v_fmac_f16_e32 v20, 0x3b9c, v22
	v_sub_f16_e32 v43, v23, v36
	v_sub_f16_e32 v45, v29, v37
	v_add_f16_e32 v46, v35, v16
	v_add_f16_e32 v47, v10, v17
	v_fmac_f16_e32 v40, 0x34f2, v8
	v_fmac_f16_e32 v39, 0xb8b4, v42
	;; [unrolled: 1-line block ×3, first 2 shown]
	v_add_f16_e32 v8, v9, v37
	v_fmamk_f16 v9, v42, 0x3b9c, v6
	v_fmac_f16_e32 v20, 0x38b4, v42
	v_add_f16_e32 v43, v43, v45
	v_fmac_f16_e32 v6, 0xbb9c, v42
	v_add_f16_e32 v42, v46, v10
	v_fma_f16 v45, -0.5, v47, v35
	v_sub_f16_e32 v36, v36, v37
	v_add_f16_e32 v37, v16, v18
	v_fmac_f16_e32 v39, 0x34f2, v21
	v_fmac_f16_e32 v9, 0xb8b4, v22
	;; [unrolled: 1-line block ×4, first 2 shown]
	v_add_f16_e32 v21, v42, v17
	v_fmamk_f16 v22, v36, 0x3b9c, v45
	v_sub_f16_e32 v23, v23, v29
	v_sub_f16_e32 v29, v16, v10
	;; [unrolled: 1-line block ×3, first 2 shown]
	v_fmac_f16_e32 v35, -0.5, v37
	v_fmac_f16_e32 v45, 0xbb9c, v36
	v_sub_f16_e32 v10, v10, v16
	v_sub_f16_e32 v16, v17, v18
	v_add_f16_e32 v17, v31, v27
	v_add_f16_e32 v21, v21, v18
	v_fmac_f16_e32 v22, 0x38b4, v23
	v_add_f16_e32 v29, v29, v42
	v_fmamk_f16 v37, v23, 0xbb9c, v35
	v_fmac_f16_e32 v45, 0xb8b4, v23
	v_add_f16_e32 v10, v10, v16
	v_fmac_f16_e32 v35, 0x3b9c, v23
	v_add_f16_e32 v16, v7, v28
	v_fma_f16 v17, -0.5, v17, v7
	v_sub_f16_e32 v18, v12, v1
	v_fmac_f16_e32 v9, 0x34f2, v43
	v_fmac_f16_e32 v6, 0x34f2, v43
	;; [unrolled: 1-line block ×6, first 2 shown]
	v_add_f16_e32 v16, v16, v31
	v_fmamk_f16 v23, v18, 0xbb9c, v17
	v_sub_f16_e32 v29, v13, v14
	v_sub_f16_e32 v36, v28, v31
	;; [unrolled: 1-line block ×3, first 2 shown]
	v_fmac_f16_e32 v17, 0x3b9c, v18
	v_add_f16_e32 v43, v28, v32
	v_lshrrev_b32_e32 v44, 16, v7
	v_add_f16_e32 v16, v16, v27
	v_fmac_f16_e32 v23, 0xb8b4, v29
	v_add_f16_e32 v36, v36, v42
	v_fmac_f16_e32 v17, 0x38b4, v29
	v_fmac_f16_e32 v7, -0.5, v43
	v_sub_f16_e32 v42, v31, v28
	v_sub_f16_e32 v43, v27, v32
	v_fmac_f16_e32 v37, 0x34f2, v10
	v_fmac_f16_e32 v35, 0x34f2, v10
	v_add_f16_e32 v10, v16, v32
	v_fmac_f16_e32 v23, 0x34f2, v36
	v_fmac_f16_e32 v17, 0x34f2, v36
	v_fmamk_f16 v16, v29, 0x3b9c, v7
	v_add_f16_e32 v36, v13, v14
	v_fmac_f16_e32 v7, 0xbb9c, v29
	v_sub_f16_e32 v28, v28, v32
	v_add_f16_e32 v32, v42, v43
	v_add_f16_e32 v42, v12, v1
	;; [unrolled: 1-line block ×3, first 2 shown]
	v_fma_f16 v36, -0.5, v36, v44
	v_fmac_f16_e32 v16, 0xb8b4, v18
	v_fmac_f16_e32 v7, 0x38b4, v18
	v_sub_f16_e32 v27, v31, v27
	v_fmac_f16_e32 v44, -0.5, v42
	v_add_f16_e32 v18, v29, v13
	v_fmamk_f16 v29, v28, 0x3b9c, v36
	v_fmac_f16_e32 v16, 0x34f2, v32
	v_fmac_f16_e32 v7, 0x34f2, v32
	v_sub_f16_e32 v31, v12, v13
	v_sub_f16_e32 v32, v1, v14
	v_fmac_f16_e32 v36, 0xbb9c, v28
	v_fmamk_f16 v42, v27, 0xbb9c, v44
	v_sub_f16_e32 v12, v13, v12
	v_sub_f16_e32 v13, v14, v1
	v_fmac_f16_e32 v44, 0x3b9c, v27
	v_add_f16_e32 v18, v18, v14
	v_fmac_f16_e32 v29, 0x38b4, v27
	v_add_f16_e32 v14, v31, v32
	v_fmac_f16_e32 v36, 0xb8b4, v27
	v_fmac_f16_e32 v42, 0x38b4, v28
	v_add_f16_e32 v12, v12, v13
	v_fmac_f16_e32 v44, 0xb8b4, v28
	v_pack_b32_f16 v13, v33, v38
	v_fmac_f16_e32 v29, 0x34f2, v14
	v_fmac_f16_e32 v36, 0x34f2, v14
	v_pack_b32_f16 v14, v30, v40
	v_pack_b32_f16 v5, v5, v11
	;; [unrolled: 1-line block ×3, first 2 shown]
	v_add_f16_e32 v1, v18, v1
	v_fmac_f16_e32 v42, 0x34f2, v12
	v_fmac_f16_e32 v44, 0x34f2, v12
	v_pack_b32_f16 v12, v15, v34
	v_pack_b32_f16 v8, v8, v21
	ds_store_b32 v54, v13 offset:1344
	ds_store_b32 v54, v14 offset:2688
	;; [unrolled: 1-line block ×4, first 2 shown]
	v_pack_b32_f16 v5, v6, v35
	v_pack_b32_f16 v6, v20, v45
	;; [unrolled: 1-line block ×4, first 2 shown]
	ds_store_2addr_b32 v54, v12, v8 offset1:112
	v_pack_b32_f16 v8, v39, v22
	ds_store_b32 v54, v5 offset:4480
	ds_store_b32 v54, v6 offset:5824
	v_pack_b32_f16 v5, v23, v29
	v_pack_b32_f16 v6, v16, v42
	;; [unrolled: 1-line block ×4, first 2 shown]
	ds_store_b32 v54, v9 offset:3136
	ds_store_b32 v54, v1 offset:896
	ds_store_2addr_b32 v3, v8, v5 offset0:64 offset1:176
	ds_store_b32 v54, v6 offset:3584
	ds_store_b32 v54, v7 offset:4928
	;; [unrolled: 1-line block ×3, first 2 shown]
	global_wb scope:SCOPE_SE
	s_wait_dscnt 0x0
	s_barrier_signal -1
	s_barrier_wait -1
	global_inv scope:SCOPE_SE
	ds_load_2addr_b32 v[5:6], v54 offset1:112
	s_wait_dscnt 0x0
	v_lshrrev_b32_e32 v1, 16, v5
	s_delay_alu instid0(VALU_DEP_1) | instskip(NEXT) | instid1(VALU_DEP_1)
	v_mul_f16_e32 v7, v83, v1
	v_fmac_f16_e32 v7, v80, v5
	v_mul_f16_e32 v5, v83, v5
	s_delay_alu instid0(VALU_DEP_2) | instskip(NEXT) | instid1(VALU_DEP_2)
	v_cvt_f32_f16_e32 v7, v7
	v_fma_f16 v1, v80, v1, -v5
	s_delay_alu instid0(VALU_DEP_2) | instskip(NEXT) | instid1(VALU_DEP_2)
	v_cvt_f64_f32_e32 v[7:8], v7
	v_cvt_f32_f16_e32 v1, v1
	s_delay_alu instid0(VALU_DEP_1) | instskip(SKIP_4) | instid1(VALU_DEP_2)
	v_cvt_f64_f32_e32 v[9:10], v1
	ds_load_2addr_b32 v[0:1], v0 offset0:32 offset1:200
	s_wait_alu 0xfffe
	v_mul_f64_e32 v[7:8], s[10:11], v[7:8]
	v_mul_f64_e32 v[9:10], s[10:11], v[9:10]
	v_and_or_b32 v5, 0x1ff, v8, v7
	s_wait_dscnt 0x0
	v_lshrrev_b32_e32 v7, 16, v1
	v_lshrrev_b32_e32 v11, 8, v8
	v_bfe_u32 v13, v8, 20, 11
	v_cmp_ne_u32_e64 s0, 0, v5
	s_delay_alu instid0(VALU_DEP_4)
	v_mul_f16_e32 v12, v82, v7
	v_and_or_b32 v9, 0x1ff, v10, v9
	v_lshrrev_b32_e32 v17, 8, v10
	v_bfe_u32 v18, v10, 20, 11
	s_wait_alu 0xf1ff
	v_cndmask_b32_e64 v5, 0, 1, s0
	v_fmac_f16_e32 v12, v81, v1
	v_cmp_ne_u32_e64 s0, 0, v9
	v_mul_f16_e32 v1, v82, v1
	v_add_nc_u32_e32 v19, 0xfffffc10, v13
	v_and_or_b32 v5, 0xffe, v11, v5
	v_sub_nc_u32_e32 v11, 0x3f1, v13
	s_wait_alu 0xf1ff
	v_cndmask_b32_e64 v9, 0, 1, s0
	v_sub_nc_u32_e32 v13, 0x3f1, v18
	v_fma_f16 v1, v81, v7, -v1
	v_or_b32_e32 v14, 0x1000, v5
	v_med3_i32 v15, v11, 0, 13
	v_cvt_f32_f16_e32 v11, v12
	v_and_or_b32 v9, 0xffe, v17, v9
	v_cvt_f32_f16_e32 v1, v1
	v_add_nc_u32_e32 v20, 0xfffffc10, v18
	v_lshrrev_b32_e32 v16, v15, v14
	v_cvt_f64_f32_e32 v[11:12], v11
	s_delay_alu instid0(VALU_DEP_2) | instskip(NEXT) | instid1(VALU_DEP_1)
	v_lshlrev_b32_e32 v15, v15, v16
	v_cmp_ne_u32_e64 s0, v15, v14
	v_or_b32_e32 v15, 0x1000, v9
	s_wait_alu 0xf1ff
	s_delay_alu instid0(VALU_DEP_2) | instskip(SKIP_1) | instid1(VALU_DEP_2)
	v_cndmask_b32_e64 v14, 0, 1, s0
	v_cmp_gt_i32_e64 s0, 1, v19
	v_or_b32_e32 v7, v16, v14
	v_lshl_or_b32 v14, v19, 12, v5
	v_med3_i32 v16, v13, 0, 13
	s_wait_alu 0xf1ff
	s_delay_alu instid0(VALU_DEP_2) | instskip(NEXT) | instid1(VALU_DEP_2)
	v_cndmask_b32_e64 v7, v14, v7, s0
	v_lshrrev_b32_e32 v17, v16, v15
	v_cvt_f64_f32_e32 v[13:14], v1
	s_delay_alu instid0(VALU_DEP_3) | instskip(NEXT) | instid1(VALU_DEP_3)
	v_and_b32_e32 v1, 7, v7
	v_lshlrev_b32_e32 v16, v16, v17
	v_lshrrev_b32_e32 v7, 2, v7
	s_delay_alu instid0(VALU_DEP_3) | instskip(SKIP_1) | instid1(VALU_DEP_4)
	v_cmp_lt_i32_e64 s0, 5, v1
	v_cmp_eq_u32_e64 s1, 3, v1
	v_cmp_ne_u32_e64 s2, v16, v15
	v_mul_f64_e32 v[11:12], s[10:11], v[11:12]
	v_mad_co_u64_u32 v[15:16], null, s6, v26, 0
	s_delay_alu instid0(VALU_DEP_4) | instskip(NEXT) | instid1(VALU_DEP_3)
	s_or_b32 s0, s1, s0
	v_cndmask_b32_e64 v1, 0, 1, s2
	s_wait_alu 0xfffe
	v_add_co_ci_u32_e64 v7, s0, 0, v7, s0
	v_cmp_ne_u32_e64 s0, 0, v5
	s_delay_alu instid0(VALU_DEP_3) | instskip(SKIP_2) | instid1(VALU_DEP_3)
	v_or_b32_e32 v1, v17, v1
	v_lshl_or_b32 v17, v20, 12, v9
	s_wait_alu 0xf1ff
	v_cndmask_b32_e64 v5, 0, 1, s0
	v_cmp_gt_i32_e64 s0, 1, v20
	s_delay_alu instid0(VALU_DEP_2) | instskip(SKIP_1) | instid1(VALU_DEP_2)
	v_lshl_or_b32 v5, v5, 9, 0x7c00
	s_wait_alu 0xf1ff
	v_cndmask_b32_e64 v18, v17, v1, s0
	v_cmp_gt_i32_e64 s0, 31, v19
	v_mov_b32_e32 v1, v16
	s_delay_alu instid0(VALU_DEP_3) | instskip(SKIP_1) | instid1(VALU_DEP_3)
	v_and_b32_e32 v21, 7, v18
	s_wait_alu 0xf1ff
	v_cndmask_b32_e64 v7, 0x7c00, v7, s0
	v_cmp_eq_u32_e64 s0, 0x40f, v19
	v_mad_co_u64_u32 v[16:17], null, s7, v26, v[1:2]
	v_lshrrev_b32_e32 v19, 16, v6
	v_cmp_eq_u32_e64 s1, 3, v21
	s_wait_alu 0xf1ff
	v_cndmask_b32_e64 v1, v7, v5, s0
	v_lshrrev_b32_e32 v5, 16, v8
	v_cmp_lt_i32_e64 s0, 5, v21
	v_mul_f64_e32 v[7:8], s[10:11], v[13:14]
	v_lshrrev_b32_e32 v13, 2, v18
	s_delay_alu instid0(VALU_DEP_4)
	v_and_or_b32 v5, 0x8000, v5, v1
	v_mul_f16_e32 v1, v79, v19
	s_or_b32 s0, s1, s0
	v_and_or_b32 v11, 0x1ff, v12, v11
	s_wait_alu 0xfffe
	v_add_co_ci_u32_e64 v13, s0, 0, v13, s0
	v_fmac_f16_e32 v1, v77, v6
	v_cmp_ne_u32_e64 s0, 0, v9
	v_lshrrev_b32_e32 v22, 8, v12
	v_bfe_u32 v23, v12, 20, 11
	v_mul_f16_e32 v6, v79, v6
	v_cvt_f32_f16_e32 v1, v1
	s_wait_alu 0xf1ff
	v_cndmask_b32_e64 v9, 0, 1, s0
	v_cmp_gt_i32_e64 s0, 31, v20
	v_and_b32_e32 v5, 0xffff, v5
	v_fma_f16 v6, v77, v19, -v6
	v_cvt_f64_f32_e32 v[17:18], v1
	v_lshl_or_b32 v9, v9, 9, 0x7c00
	s_wait_alu 0xf1ff
	v_cndmask_b32_e64 v21, 0x7c00, v13, s0
	v_cmp_ne_u32_e64 s0, 0, v11
	v_mad_co_u64_u32 v[13:14], null, s4, v75, 0
	v_lshrrev_b32_e32 v12, 16, v12
	s_wait_alu 0xf1ff
	s_delay_alu instid0(VALU_DEP_3) | instskip(SKIP_1) | instid1(VALU_DEP_4)
	v_cndmask_b32_e64 v11, 0, 1, s0
	v_cmp_eq_u32_e64 s0, 0x40f, v20
	v_mov_b32_e32 v1, v14
	s_delay_alu instid0(VALU_DEP_3) | instskip(SKIP_1) | instid1(VALU_DEP_3)
	v_and_or_b32 v11, 0xffe, v22, v11
	s_wait_alu 0xf1ff
	v_cndmask_b32_e64 v20, v21, v9, s0
	v_sub_nc_u32_e32 v14, 0x3f1, v23
	v_lshrrev_b32_e32 v21, 16, v10
	v_mad_co_u64_u32 v[9:10], null, s5, v75, v[1:2]
	v_or_b32_e32 v1, 0x1000, v11
	s_delay_alu instid0(VALU_DEP_4) | instskip(NEXT) | instid1(VALU_DEP_4)
	v_med3_i32 v10, v14, 0, 13
	v_and_or_b32 v20, 0x8000, v21, v20
	v_and_or_b32 v7, 0x1ff, v8, v7
	v_add_nc_u32_e32 v22, 0xfffffc10, v23
	v_lshrrev_b32_e32 v28, 16, v8
	v_mov_b32_e32 v14, v9
	v_lshrrev_b32_e32 v21, v10, v1
	v_lshl_or_b32 v19, v20, 16, v5
	v_cvt_f32_f16_e32 v5, v6
	v_cmp_ne_u32_e64 s0, 0, v7
	v_bfe_u32 v20, v8, 20, 11
	v_lshlrev_b32_e32 v9, v10, v21
	v_lshrrev_b32_e32 v10, 8, v8
	v_cvt_f64_f32_e32 v[5:6], v5
	s_wait_alu 0xf1ff
	v_cndmask_b32_e64 v7, 0, 1, s0
	v_sub_nc_u32_e32 v23, 0x3f1, v20
	v_cmp_ne_u32_e64 s0, v9, v1
	v_lshlrev_b64_e32 v[13:14], 2, v[13:14]
	v_add_nc_u32_e32 v20, 0xfffffc10, v20
	v_and_or_b32 v7, 0xffe, v10, v7
	v_lshlrev_b64_e32 v[9:10], 2, v[15:16]
	s_wait_alu 0xf1ff
	v_cndmask_b32_e64 v1, 0, 1, s0
	v_mul_f64_e32 v[15:16], s[10:11], v[17:18]
	v_cmp_gt_i32_e64 s0, 1, v22
	v_or_b32_e32 v26, 0x1000, v7
	v_med3_i32 v23, v23, 0, 13
	v_or_b32_e32 v1, v21, v1
	v_lshl_or_b32 v21, v22, 12, v11
	v_add_nc_u32_e32 v17, 0xe00, v54
	s_wait_alu 0xf1ff
	s_delay_alu instid0(VALU_DEP_2)
	v_cndmask_b32_e64 v1, v21, v1, s0
	v_add_co_u32 v9, s0, s8, v9
	v_lshrrev_b32_e32 v21, v23, v26
	ds_load_2addr_b32 v[17:18], v17 offset0:56 offset1:168
	s_wait_alu 0xf1ff
	v_add_co_ci_u32_e64 v10, s0, s9, v10, s0
	v_and_b32_e32 v27, 7, v1
	v_add_co_u32 v9, s0, v9, v13
	v_lshlrev_b32_e32 v23, v23, v21
	s_wait_alu 0xf1ff
	v_add_co_ci_u32_e64 v10, s0, v10, v14, s0
	v_cmp_lt_i32_e64 s0, 5, v27
	v_cmp_eq_u32_e64 s1, 3, v27
	v_lshrrev_b32_e32 v1, 2, v1
	v_cmp_ne_u32_e64 s2, v23, v26
	v_lshl_or_b32 v14, v20, 12, v7
	global_store_b32 v[9:10], v19, off
	s_or_b32 s0, s1, s0
	v_mul_f64_e32 v[5:6], s[10:11], v[5:6]
	s_wait_alu 0xfffe
	v_add_co_ci_u32_e64 v1, s0, 0, v1, s0
	v_cndmask_b32_e64 v13, 0, 1, s2
	v_cmp_ne_u32_e64 s0, 0, v11
	s_delay_alu instid0(VALU_DEP_2)
	v_or_b32_e32 v13, v21, v13
	s_wait_dscnt 0x0
	v_lshrrev_b32_e32 v21, 16, v17
	s_wait_alu 0xf1ff
	v_cndmask_b32_e64 v11, 0, 1, s0
	v_cmp_gt_i32_e64 s0, 1, v20
	v_and_or_b32 v15, 0x1ff, v16, v15
	s_delay_alu instid0(VALU_DEP_3) | instskip(SKIP_1) | instid1(VALU_DEP_3)
	v_lshl_or_b32 v11, v11, 9, 0x7c00
	s_wait_alu 0xf1ff
	v_cndmask_b32_e64 v13, v14, v13, s0
	v_mul_f16_e32 v14, v78, v21
	v_cmp_gt_i32_e64 s0, 31, v22
	v_cmp_ne_u32_e64 s1, 0, v15
	v_lshrrev_b32_e32 v15, 8, v16
	v_and_b32_e32 v23, 7, v13
	v_fmac_f16_e32 v14, v76, v17
	s_wait_alu 0xf1ff
	v_cndmask_b32_e64 v1, 0x7c00, v1, s0
	v_cmp_eq_u32_e64 s0, 0x40f, v22
	v_bfe_u32 v22, v16, 20, 11
	v_lshrrev_b32_e32 v16, 16, v16
	v_cvt_f32_f16_e32 v14, v14
	s_wait_alu 0xf1ff
	v_cndmask_b32_e64 v1, v1, v11, s0
	v_cmp_lt_i32_e64 s0, 5, v23
	v_cndmask_b32_e64 v11, 0, 1, s1
	v_cmp_eq_u32_e64 s1, 3, v23
	v_lshrrev_b32_e32 v23, 2, v13
	v_cvt_f64_f32_e32 v[13:14], v14
	v_and_or_b32 v1, 0x8000, v12, v1
	v_and_or_b32 v15, 0xffe, v15, v11
	s_or_b32 s0, s1, s0
	v_sub_nc_u32_e32 v11, 0x3f1, v22
	s_wait_alu 0xfffe
	v_add_co_ci_u32_e64 v23, s0, 0, v23, s0
	v_cmp_ne_u32_e64 s0, 0, v7
	v_or_b32_e32 v26, 0x1000, v15
	v_med3_i32 v11, v11, 0, 13
	v_and_or_b32 v5, 0x1ff, v6, v5
	v_lshrrev_b32_e32 v12, 8, v6
	s_wait_alu 0xf1ff
	v_cndmask_b32_e64 v7, 0, 1, s0
	v_cmp_gt_i32_e64 s0, 31, v20
	v_lshrrev_b32_e32 v27, v11, v26
	v_and_b32_e32 v1, 0xffff, v1
	s_delay_alu instid0(VALU_DEP_4) | instskip(SKIP_4) | instid1(VALU_DEP_1)
	v_lshl_or_b32 v7, v7, 9, 0x7c00
	s_wait_alu 0xf1ff
	v_cndmask_b32_e64 v23, 0x7c00, v23, s0
	v_cmp_eq_u32_e64 s0, 0x40f, v20
	s_wait_alu 0xf1ff
	v_cndmask_b32_e64 v20, v23, v7, s0
	v_lshlrev_b32_e32 v7, v11, v27
	v_cmp_ne_u32_e64 s0, 0, v5
	v_mul_f16_e32 v11, v78, v17
	v_bfe_u32 v17, v6, 20, 11
	v_and_or_b32 v20, 0x8000, v28, v20
	s_wait_alu 0xf1ff
	v_cndmask_b32_e64 v5, 0, 1, s0
	v_cmp_ne_u32_e64 s0, v7, v26
	v_fma_f16 v11, v76, v21, -v11
	v_add_nc_u32_e32 v21, 0xfffffc10, v22
	v_lshl_or_b32 v1, v20, 16, v1
	v_and_or_b32 v22, 0xffe, v12, v5
	s_wait_alu 0xf1ff
	v_cndmask_b32_e64 v7, 0, 1, s0
	v_sub_nc_u32_e32 v5, 0x3f1, v17
	v_cvt_f32_f16_e32 v11, v11
	v_lshl_or_b32 v26, v21, 12, v15
	v_cmp_gt_i32_e64 s0, 1, v21
	v_or_b32_e32 v23, v27, v7
	v_or_b32_e32 v27, 0x1000, v22
	v_med3_i32 v5, v5, 0, 13
	v_mul_f64_e32 v[7:8], s[10:11], v[13:14]
	v_cvt_f64_f32_e32 v[11:12], v11
	s_wait_alu 0xf1ff
	v_cndmask_b32_e64 v13, v26, v23, s0
	s_mul_u64 s[0:1], s[4:5], 0x348
	v_lshrrev_b32_e32 v14, v5, v27
	s_wait_alu 0xfffe
	s_lshl_b64 s[6:7], s[0:1], 2
	v_add_nc_u32_e32 v17, 0xfffffc10, v17
	v_and_b32_e32 v19, 7, v13
	v_lshrrev_b32_e32 v13, 2, v13
	v_lshlrev_b32_e32 v5, v5, v14
	s_delay_alu instid0(VALU_DEP_3) | instskip(NEXT) | instid1(VALU_DEP_2)
	v_cmp_lt_i32_e64 s0, 5, v19
	v_cmp_ne_u32_e64 s1, v5, v27
	ds_load_2addr_b32 v[4:5], v4 offset0:96 offset1:208
	s_wait_alu 0xf1ff
	v_cndmask_b32_e64 v20, 0, 1, s1
	v_cmp_eq_u32_e64 s1, 3, v19
	v_lshl_or_b32 v19, v17, 12, v22
	s_delay_alu instid0(VALU_DEP_3) | instskip(NEXT) | instid1(VALU_DEP_3)
	v_or_b32_e32 v14, v14, v20
	s_or_b32 s0, s1, s0
	s_wait_alu 0xfffe
	v_add_co_ci_u32_e64 v13, s0, 0, v13, s0
	v_cmp_ne_u32_e64 s0, 0, v15
	s_wait_alu 0xf1ff
	s_delay_alu instid0(VALU_DEP_1)
	v_cndmask_b32_e64 v15, 0, 1, s0
	v_cmp_gt_i32_e64 s0, 1, v17
	s_wait_dscnt 0x0
	v_lshrrev_b32_e32 v20, 16, v4
	v_and_or_b32 v7, 0x1ff, v8, v7
	v_lshl_or_b32 v15, v15, 9, 0x7c00
	s_wait_alu 0xf1ff
	v_cndmask_b32_e64 v14, v19, v14, s0
	v_add_co_u32 v9, s0, v9, s6
	s_wait_alu 0xf1ff
	v_add_co_ci_u32_e64 v10, s0, s7, v10, s0
	v_cmp_gt_i32_e64 s0, 31, v21
	v_mul_f64_e32 v[11:12], s[10:11], v[11:12]
	v_cmp_ne_u32_e64 s1, 0, v7
	v_and_b32_e32 v19, 7, v14
	v_bfe_u32 v23, v8, 20, 11
	s_wait_alu 0xf1ff
	v_cndmask_b32_e64 v13, 0x7c00, v13, s0
	v_cmp_eq_u32_e64 s0, 0x40f, v21
	v_cndmask_b32_e64 v7, 0, 1, s1
	v_lshrrev_b32_e32 v21, 8, v8
	v_cmp_eq_u32_e64 s1, 3, v19
	v_lshrrev_b32_e32 v14, 2, v14
	s_wait_alu 0xf1ff
	v_cndmask_b32_e64 v15, v13, v15, s0
	v_mul_f16_e32 v13, v74, v20
	v_cmp_lt_i32_e64 s0, 5, v19
	v_and_or_b32 v19, 0xffe, v21, v7
	v_sub_nc_u32_e32 v7, 0x3f1, v23
	v_and_or_b32 v15, 0x8000, v16, v15
	v_fmac_f16_e32 v13, v72, v4
	s_or_b32 s0, s1, s0
	v_or_b32_e32 v26, 0x1000, v19
	s_wait_alu 0xfffe
	v_add_co_ci_u32_e64 v21, s0, 0, v14, s0
	v_cvt_f32_f16_e32 v13, v13
	v_med3_i32 v7, v7, 0, 13
	v_cmp_ne_u32_e64 s0, 0, v22
	v_mul_f16_e32 v4, v74, v4
	v_and_b32_e32 v15, 0xffff, v15
	v_cvt_f64_f32_e32 v[13:14], v13
	v_lshrrev_b32_e32 v27, v7, v26
	s_wait_alu 0xf1ff
	v_cndmask_b32_e64 v22, 0, 1, s0
	v_cmp_gt_i32_e64 s0, 31, v17
	v_fma_f16 v4, v72, v20, -v4
	v_lshrrev_b32_e32 v20, 16, v6
	v_lshlrev_b32_e32 v7, v7, v27
	v_lshl_or_b32 v22, v22, 9, 0x7c00
	s_wait_alu 0xf1ff
	v_cndmask_b32_e64 v21, 0x7c00, v21, s0
	v_cmp_eq_u32_e64 s0, 0x40f, v17
	v_cvt_f32_f16_e32 v4, v4
	v_add_nc_u32_e32 v17, 0xfffffc10, v23
	v_and_or_b32 v11, 0x1ff, v12, v11
	v_bfe_u32 v23, v12, 20, 11
	s_wait_alu 0xf1ff
	v_cndmask_b32_e64 v16, v21, v22, s0
	v_cmp_ne_u32_e64 s0, v7, v26
	v_lshl_or_b32 v22, v17, 12, v19
	v_lshrrev_b32_e32 v8, 16, v8
	s_delay_alu instid0(VALU_DEP_4) | instskip(SKIP_3) | instid1(VALU_DEP_2)
	v_and_or_b32 v16, 0x8000, v20, v16
	s_wait_alu 0xf1ff
	v_cndmask_b32_e64 v7, 0, 1, s0
	v_cmp_ne_u32_e64 s0, 0, v11
	v_or_b32_e32 v21, v27, v7
	v_cvt_f64_f32_e32 v[6:7], v4
	s_wait_alu 0xf1ff
	s_delay_alu instid0(VALU_DEP_3) | instskip(SKIP_4) | instid1(VALU_DEP_3)
	v_cndmask_b32_e64 v11, 0, 1, s0
	v_cmp_gt_i32_e64 s0, 1, v17
	v_lshrrev_b32_e32 v4, 8, v12
	v_lshrrev_b32_e32 v12, 16, v12
	s_wait_alu 0xf1ff
	v_cndmask_b32_e64 v20, v22, v21, s0
	s_delay_alu instid0(VALU_DEP_3)
	v_and_or_b32 v4, 0xffe, v4, v11
	v_sub_nc_u32_e32 v11, 0x3f1, v23
	s_movk_i32 s0, 0xfd28
	s_mov_b32 s1, -1
	v_mul_f64_e32 v[13:14], s[10:11], v[13:14]
	v_and_b32_e32 v21, 7, v20
	v_or_b32_e32 v22, 0x1000, v4
	v_med3_i32 v11, v11, 0, 13
	s_wait_alu 0xfffe
	s_mul_u64 s[2:3], s[4:5], s[0:1]
	v_cmp_lt_i32_e64 s0, 5, v21
	v_cmp_eq_u32_e64 s1, 3, v21
	v_lshl_or_b32 v21, v16, 16, v15
	v_lshrrev_b32_e32 v15, 2, v20
	v_lshrrev_b32_e32 v26, v11, v22
	s_wait_alu 0xfffe
	s_lshl_b64 s[4:5], s[2:3], 2
	s_or_b32 s0, s1, s0
	s_wait_alu 0xfffe
	v_add_co_ci_u32_e64 v15, s0, 0, v15, s0
	v_lshlrev_b32_e32 v11, v11, v26
	v_cmp_ne_u32_e64 s0, 0, v19
	s_wait_alu 0xf1ff
	s_delay_alu instid0(VALU_DEP_1) | instskip(NEXT) | instid1(VALU_DEP_3)
	v_cndmask_b32_e64 v16, 0, 1, s0
	v_cmp_ne_u32_e64 s0, v11, v22
	v_add_nc_u32_e32 v22, 0xfffffc10, v23
	v_lshrrev_b32_e32 v23, 16, v18
	v_mul_f64_e32 v[6:7], s[10:11], v[6:7]
	v_lshl_or_b32 v16, v16, 9, 0x7c00
	s_wait_alu 0xf1ff
	v_cndmask_b32_e64 v11, 0, 1, s0
	v_cmp_gt_i32_e64 s0, 31, v17
	v_mul_f16_e32 v20, v73, v23
	v_lshl_or_b32 v19, v22, 12, v4
	s_delay_alu instid0(VALU_DEP_4)
	v_or_b32_e32 v11, v26, v11
	s_wait_alu 0xf1ff
	v_cndmask_b32_e64 v15, 0x7c00, v15, s0
	v_cmp_gt_i32_e64 s0, 1, v22
	v_fmac_f16_e32 v20, v71, v18
	v_mul_f16_e32 v18, v73, v18
	v_and_or_b32 v13, 0x1ff, v14, v13
	s_wait_alu 0xf1ff
	v_cndmask_b32_e64 v11, v19, v11, s0
	v_cvt_f32_f16_e32 v19, v20
	v_cmp_eq_u32_e64 s0, 0x40f, v17
	v_cmp_ne_u32_e64 s2, 0, v13
	v_fma_f16 v18, v71, v23, -v18
	v_and_b32_e32 v26, 7, v11
	v_cvt_f64_f32_e32 v[19:20], v19
	s_wait_alu 0xf1ff
	v_cndmask_b32_e64 v17, v15, v16, s0
	v_add_co_u32 v15, s0, v9, s4
	s_wait_alu 0xf1ff
	v_add_co_ci_u32_e64 v16, s0, s5, v10, s0
	v_cmp_lt_i32_e64 s0, 5, v26
	v_cmp_eq_u32_e64 s1, 3, v26
	v_lshrrev_b32_e32 v11, 2, v11
	v_and_or_b32 v8, 0x8000, v8, v17
	v_cndmask_b32_e64 v13, 0, 1, s2
	v_lshrrev_b32_e32 v17, 8, v14
	v_bfe_u32 v26, v14, 20, 11
	s_or_b32 s0, s1, s0
	v_and_b32_e32 v8, 0xffff, v8
	s_wait_alu 0xfffe
	v_add_co_ci_u32_e64 v11, s0, 0, v11, s0
	v_and_or_b32 v13, 0xffe, v17, v13
	v_sub_nc_u32_e32 v17, 0x3f1, v26
	v_cmp_ne_u32_e64 s0, 0, v4
	v_and_or_b32 v6, 0x1ff, v7, v6
	s_clause 0x1
	global_store_b32 v[9:10], v1, off
	global_store_b32 v[15:16], v21, off
	v_or_b32_e32 v23, 0x1000, v13
	v_med3_i32 v27, v17, 0, 13
	s_wait_alu 0xf1ff
	v_cndmask_b32_e64 v4, 0, 1, s0
	v_cmp_gt_i32_e64 s0, 31, v22
	v_cvt_f32_f16_e32 v17, v18
	v_lshrrev_b32_e32 v28, v27, v23
	s_delay_alu instid0(VALU_DEP_4)
	v_lshl_or_b32 v4, v4, 9, 0x7c00
	s_wait_alu 0xf1ff
	v_cndmask_b32_e64 v11, 0x7c00, v11, s0
	v_cmp_eq_u32_e64 s0, 0x40f, v22
	v_cvt_f64_f32_e32 v[17:18], v17
	v_lshrrev_b32_e32 v22, 8, v7
	s_wait_alu 0xf1ff
	s_delay_alu instid0(VALU_DEP_3)
	v_cndmask_b32_e64 v4, v11, v4, s0
	v_lshlrev_b32_e32 v11, v27, v28
	v_cmp_ne_u32_e64 s0, 0, v6
	v_bfe_u32 v27, v7, 20, 11
	v_mul_f64_e32 v[19:20], s[10:11], v[19:20]
	v_and_or_b32 v4, 0x8000, v12, v4
	v_lshrrev_b32_e32 v7, 16, v7
	s_wait_alu 0xf1ff
	v_cndmask_b32_e64 v6, 0, 1, s0
	v_cmp_ne_u32_e64 s0, v11, v23
	v_add_nc_u32_e32 v23, 0xfffffc10, v26
	v_lshl_or_b32 v1, v4, 16, v8
	s_delay_alu instid0(VALU_DEP_4)
	v_and_or_b32 v6, 0xffe, v22, v6
	s_wait_alu 0xf1ff
	v_cndmask_b32_e64 v11, 0, 1, s0
	v_sub_nc_u32_e32 v22, 0x3f1, v27
	v_lshl_or_b32 v26, v23, 12, v13
	v_cmp_gt_i32_e64 s0, 1, v23
	s_delay_alu instid0(VALU_DEP_4) | instskip(SKIP_3) | instid1(VALU_DEP_3)
	v_or_b32_e32 v11, v28, v11
	v_or_b32_e32 v28, 0x1000, v6
	v_med3_i32 v22, v22, 0, 13
	s_wait_alu 0xf1ff
	v_cndmask_b32_e64 v11, v26, v11, s0
	v_add_co_u32 v8, s0, v15, s6
	s_delay_alu instid0(VALU_DEP_3)
	v_lshrrev_b32_e32 v12, v22, v28
	s_wait_alu 0xf1ff
	v_add_co_ci_u32_e64 v9, s0, s7, v16, s0
	v_and_b32_e32 v4, 7, v11
	v_add_nc_u32_e32 v16, 0xfffffc10, v27
	v_lshlrev_b32_e32 v10, v22, v12
	global_store_b32 v[8:9], v1, off
	v_cmp_lt_i32_e64 s0, 5, v4
	v_cmp_eq_u32_e64 s1, 3, v4
	v_lshrrev_b32_e32 v4, 2, v11
	v_cmp_ne_u32_e64 s2, v10, v28
	v_mul_f64_e32 v[10:11], s[10:11], v[17:18]
	v_lshrrev_b32_e32 v17, 16, v5
	s_or_b32 s0, s1, s0
	s_wait_alu 0xfffe
	v_add_co_ci_u32_e64 v4, s0, 0, v4, s0
	v_cndmask_b32_e64 v15, 0, 1, s2
	v_cmp_ne_u32_e64 s0, 0, v13
	v_mul_f16_e32 v18, v70, v17
	v_lshrrev_b32_e32 v22, 8, v20
	v_bfe_u32 v26, v20, 20, 11
	v_or_b32_e32 v12, v12, v15
	v_lshl_or_b32 v15, v16, 12, v6
	s_wait_alu 0xf1ff
	v_cndmask_b32_e64 v13, 0, 1, s0
	v_cmp_gt_i32_e64 s0, 1, v16
	v_fmac_f16_e32 v18, v68, v5
	v_mul_f16_e32 v5, v70, v5
	s_wait_alu 0xf1ff
	s_delay_alu instid0(VALU_DEP_3)
	v_cndmask_b32_e64 v15, v15, v12, s0
	v_and_or_b32 v12, 0x1ff, v20, v19
	v_cmp_gt_i32_e64 s0, 31, v23
	v_lshl_or_b32 v19, v13, 9, 0x7c00
	v_cvt_f32_f16_e32 v13, v18
	v_and_b32_e32 v21, 7, v15
	v_lshrrev_b32_e32 v15, 2, v15
	s_wait_alu 0xf1ff
	v_cndmask_b32_e64 v4, 0x7c00, v4, s0
	v_cmp_ne_u32_e64 s0, 0, v12
	v_cvt_f64_f32_e32 v[12:13], v13
	v_cmp_eq_u32_e64 s1, 3, v21
	v_fma_f16 v5, v68, v17, -v5
	v_lshrrev_b32_e32 v20, 16, v20
	s_wait_alu 0xf1ff
	v_cndmask_b32_e64 v18, 0, 1, s0
	v_cmp_eq_u32_e64 s0, 0x40f, v23
	v_cvt_f32_f16_e32 v5, v5
	s_delay_alu instid0(VALU_DEP_3) | instskip(SKIP_1) | instid1(VALU_DEP_3)
	v_and_or_b32 v18, 0xffe, v22, v18
	s_wait_alu 0xf1ff
	v_cndmask_b32_e64 v19, v4, v19, s0
	v_sub_nc_u32_e32 v4, 0x3f1, v26
	v_cmp_lt_i32_e64 s0, 5, v21
	v_lshrrev_b32_e32 v22, 16, v14
	v_or_b32_e32 v21, 0x1000, v18
	v_and_or_b32 v10, 0x1ff, v11, v10
	v_med3_i32 v4, v4, 0, 13
	s_or_b32 s0, s1, s0
	v_bfe_u32 v17, v11, 20, 11
	s_wait_alu 0xfffe
	v_add_co_ci_u32_e64 v14, s0, 0, v15, s0
	v_lshrrev_b32_e32 v15, v4, v21
	v_cmp_gt_i32_e64 s0, 31, v16
	v_add_nc_u32_e32 v26, 0xfffffc10, v26
	v_and_or_b32 v1, 0x8000, v22, v19
	s_delay_alu instid0(VALU_DEP_4)
	v_lshlrev_b32_e32 v4, v4, v15
	s_wait_alu 0xf1ff
	v_cndmask_b32_e64 v23, 0x7c00, v14, s0
	v_cmp_ne_u32_e64 s0, 0, v10
	v_lshrrev_b32_e32 v14, 8, v11
	v_lshrrev_b32_e32 v11, 16, v11
	v_and_b32_e32 v1, 0xffff, v1
	s_wait_alu 0xf1ff
	v_cndmask_b32_e64 v10, 0, 1, s0
	v_cmp_ne_u32_e64 s0, v4, v21
	v_cvt_f64_f32_e32 v[4:5], v5
	s_delay_alu instid0(VALU_DEP_3) | instskip(SKIP_1) | instid1(VALU_DEP_3)
	v_and_or_b32 v10, 0xffe, v14, v10
	s_wait_alu 0xf1ff
	v_cndmask_b32_e64 v21, 0, 1, s0
	v_sub_nc_u32_e32 v14, 0x3f1, v17
	v_cmp_ne_u32_e64 s0, 0, v6
	v_mul_f64_e32 v[12:13], s[10:11], v[12:13]
	v_or_b32_e32 v27, 0x1000, v10
	v_or_b32_e32 v15, v15, v21
	v_lshl_or_b32 v21, v26, 12, v18
	s_wait_alu 0xf1ff
	v_cndmask_b32_e64 v6, 0, 1, s0
	v_med3_i32 v28, v14, 0, 13
	v_cmp_gt_i32_e64 s0, 1, v26
	v_add_nc_u32_e32 v14, 0x1200, v54
	v_add_nc_u32_e32 v17, 0xfffffc10, v17
	v_lshl_or_b32 v6, v6, 9, 0x7c00
	v_lshrrev_b32_e32 v29, v28, v27
	s_wait_alu 0xf1ff
	v_cndmask_b32_e64 v21, v21, v15, s0
	v_cmp_eq_u32_e64 s0, 0x40f, v16
	ds_load_2addr_b32 v[14:15], v14 offset0:24 offset1:136
	v_and_b32_e32 v16, 7, v21
	s_wait_alu 0xf1ff
	v_cndmask_b32_e64 v6, v23, v6, s0
	v_lshlrev_b32_e32 v23, v28, v29
	s_delay_alu instid0(VALU_DEP_3) | instskip(NEXT) | instid1(VALU_DEP_3)
	v_cmp_lt_i32_e64 s0, 5, v16
	v_and_or_b32 v19, 0x8000, v7, v6
	s_delay_alu instid0(VALU_DEP_3) | instskip(SKIP_1) | instid1(VALU_DEP_3)
	v_cmp_ne_u32_e64 s1, v23, v27
	v_lshrrev_b32_e32 v7, 2, v21
	v_lshl_or_b32 v1, v19, 16, v1
	s_wait_alu 0xf1ff
	s_delay_alu instid0(VALU_DEP_3) | instskip(SKIP_3) | instid1(VALU_DEP_4)
	v_cndmask_b32_e64 v6, 0, 1, s1
	v_cmp_eq_u32_e64 s1, 3, v16
	v_lshl_or_b32 v16, v17, 12, v10
	v_mul_f64_e32 v[4:5], s[10:11], v[4:5]
	v_or_b32_e32 v6, v29, v6
	s_delay_alu instid0(VALU_DEP_4)
	s_or_b32 s0, s1, s0
	s_wait_dscnt 0x0
	v_lshrrev_b32_e32 v21, 16, v14
	s_wait_alu 0xfffe
	v_add_co_ci_u32_e64 v7, s0, 0, v7, s0
	v_cmp_gt_i32_e64 s0, 1, v17
	v_bfe_u32 v27, v13, 20, 11
	s_wait_alu 0xf1ff
	s_delay_alu instid0(VALU_DEP_2) | instskip(SKIP_2) | instid1(VALU_DEP_3)
	v_cndmask_b32_e64 v6, v16, v6, s0
	v_cmp_ne_u32_e64 s0, 0, v18
	v_mul_f16_e32 v18, v69, v21
	v_and_b32_e32 v22, 7, v6
	s_wait_alu 0xf1ff
	s_delay_alu instid0(VALU_DEP_3) | instskip(SKIP_3) | instid1(VALU_DEP_4)
	v_cndmask_b32_e64 v16, 0, 1, s0
	v_cmp_gt_i32_e64 s0, 31, v26
	v_fmac_f16_e32 v18, v67, v14
	v_cmp_eq_u32_e64 s1, 3, v22
	v_lshl_or_b32 v16, v16, 9, 0x7c00
	s_wait_alu 0xf1ff
	v_cndmask_b32_e64 v23, 0x7c00, v7, s0
	v_and_or_b32 v7, 0x1ff, v13, v12
	v_cmp_lt_i32_e64 s0, 5, v22
	v_lshrrev_b32_e32 v12, 2, v6
	v_cvt_f32_f16_e32 v6, v18
	v_lshrrev_b32_e32 v22, 8, v13
	v_cmp_ne_u32_e64 s2, 0, v7
	s_or_b32 s0, s1, s0
	s_wait_alu 0xfffe
	v_add_co_ci_u32_e64 v12, s0, 0, v12, s0
	s_delay_alu instid0(VALU_DEP_2) | instskip(SKIP_3) | instid1(VALU_DEP_4)
	v_cndmask_b32_e64 v18, 0, 1, s2
	v_cmp_ne_u32_e64 s0, 0, v10
	v_cvt_f64_f32_e32 v[6:7], v6
	v_and_or_b32 v4, 0x1ff, v5, v4
	v_and_or_b32 v18, 0xffe, v22, v18
	v_sub_nc_u32_e32 v22, 0x3f1, v27
	s_wait_alu 0xf1ff
	v_cndmask_b32_e64 v10, 0, 1, s0
	v_cmp_gt_i32_e64 s0, 31, v17
	v_or_b32_e32 v28, 0x1000, v18
	v_med3_i32 v22, v22, 0, 13
	s_delay_alu instid0(VALU_DEP_4) | instskip(SKIP_4) | instid1(VALU_DEP_1)
	v_lshl_or_b32 v10, v10, 9, 0x7c00
	s_wait_alu 0xf1ff
	v_cndmask_b32_e64 v12, 0x7c00, v12, s0
	v_cmp_eq_u32_e64 s0, 0x40f, v26
	s_wait_alu 0xf1ff
	v_cndmask_b32_e64 v16, v23, v16, s0
	v_lshrrev_b32_e32 v23, v22, v28
	v_cmp_eq_u32_e64 s0, 0x40f, v17
	s_delay_alu instid0(VALU_DEP_3) | instskip(SKIP_2) | instid1(VALU_DEP_3)
	v_and_or_b32 v16, 0x8000, v20, v16
	v_add_nc_u32_e32 v20, 0xfffffc10, v27
	s_wait_alu 0xf1ff
	v_cndmask_b32_e64 v10, v12, v10, s0
	v_lshlrev_b32_e32 v12, v22, v23
	v_and_b32_e32 v16, 0xffff, v16
	s_delay_alu instid0(VALU_DEP_3) | instskip(SKIP_1) | instid1(VALU_DEP_4)
	v_and_or_b32 v17, 0x8000, v11, v10
	v_mul_f16_e32 v10, v69, v14
	v_cmp_ne_u32_e64 s0, v12, v28
	v_lshrrev_b32_e32 v12, 8, v5
	v_bfe_u32 v14, v5, 20, 11
	v_lshl_or_b32 v26, v17, 16, v16
	v_fma_f16 v10, v67, v21, -v10
	s_wait_alu 0xf1ff
	v_cndmask_b32_e64 v11, 0, 1, s0
	v_cmp_ne_u32_e64 s0, 0, v4
	v_mul_f64_e32 v[6:7], s[10:11], v[6:7]
	v_lshl_or_b32 v21, v20, 12, v18
	v_cvt_f32_f16_e32 v10, v10
	v_or_b32_e32 v19, v23, v11
	s_wait_alu 0xf1ff
	v_cndmask_b32_e64 v4, 0, 1, s0
	v_cmp_gt_i32_e64 s0, 1, v20
	v_cvt_f64_f32_e32 v[10:11], v10
	s_delay_alu instid0(VALU_DEP_3)
	v_and_or_b32 v12, 0xffe, v12, v4
	v_sub_nc_u32_e32 v4, 0x3f1, v14
	s_wait_alu 0xf1ff
	v_cndmask_b32_e64 v19, v21, v19, s0
	v_add_co_u32 v8, s0, v8, s4
	v_or_b32_e32 v22, 0x1000, v12
	v_med3_i32 v23, v4, 0, 13
	ds_load_2addr_b32 v[3:4], v3 offset0:64 offset1:176
	s_wait_alu 0xf1ff
	v_add_co_ci_u32_e64 v9, s0, s5, v9, s0
	v_and_b32_e32 v27, 7, v19
	v_lshrrev_b32_e32 v21, v23, v22
	v_add_co_u32 v16, s0, v8, s6
	s_wait_alu 0xf1ff
	v_add_co_ci_u32_e64 v17, s0, s7, v9, s0
	s_delay_alu instid0(VALU_DEP_3)
	v_lshlrev_b32_e32 v23, v23, v21
	v_cmp_lt_i32_e64 s0, 5, v27
	v_cmp_eq_u32_e64 s1, 3, v27
	v_lshrrev_b32_e32 v19, 2, v19
	v_add_nc_u32_e32 v14, 0xfffffc10, v14
	v_cmp_ne_u32_e64 s2, v23, v22
	global_store_b32 v[8:9], v1, off
	global_store_b32 v[16:17], v26, off
	s_or_b32 s0, s1, s0
	s_wait_alu 0xfffe
	v_add_co_ci_u32_e64 v19, s0, 0, v19, s0
	v_cndmask_b32_e64 v22, 0, 1, s2
	s_wait_dscnt 0x0
	v_lshrrev_b32_e32 v23, 16, v3
	v_cmp_ne_u32_e64 s0, 0, v18
	v_and_or_b32 v6, 0x1ff, v7, v6
	v_lshrrev_b32_e32 v29, 8, v7
	v_or_b32_e32 v21, v21, v22
	v_lshl_or_b32 v22, v14, 12, v12
	v_mul_f16_e32 v27, v66, v23
	s_wait_alu 0xf1ff
	v_cndmask_b32_e64 v18, 0, 1, s0
	v_cmp_gt_i32_e64 s0, 1, v14
	v_mul_f64_e32 v[10:11], s[10:11], v[10:11]
	v_bfe_u32 v30, v7, 20, 11
	v_fmac_f16_e32 v27, v65, v3
	v_mul_f16_e32 v3, v66, v3
	s_wait_alu 0xf1ff
	v_cndmask_b32_e64 v21, v22, v21, s0
	v_cmp_gt_i32_e64 s0, 31, v20
	v_lshrrev_b32_e32 v7, 16, v7
	v_fma_f16 v3, v65, v23, -v3
	s_delay_alu instid0(VALU_DEP_4)
	v_and_b32_e32 v28, 7, v21
	s_wait_alu 0xf1ff
	v_cndmask_b32_e64 v22, 0x7c00, v19, s0
	v_cvt_f32_f16_e32 v19, v27
	v_cmp_ne_u32_e64 s0, 0, v6
	v_lshl_or_b32 v27, v18, 9, 0x7c00
	v_cmp_eq_u32_e64 s1, 3, v28
	v_cvt_f32_f16_e32 v3, v3
	v_cvt_f64_f32_e32 v[18:19], v19
	s_wait_alu 0xf1ff
	v_cndmask_b32_e64 v6, 0, 1, s0
	v_cmp_eq_u32_e64 s0, 0x40f, v20
	s_wait_alu 0xf1ff
	s_delay_alu instid0(VALU_DEP_1)
	v_cndmask_b32_e64 v20, v22, v27, s0
	v_cmp_lt_i32_e64 s0, 5, v28
	v_lshrrev_b32_e32 v22, 16, v13
	v_lshrrev_b32_e32 v13, 2, v21
	v_and_or_b32 v27, 0xffe, v29, v6
	v_sub_nc_u32_e32 v6, 0x3f1, v30
	s_or_b32 s0, s1, s0
	s_wait_alu 0xfffe
	v_add_co_ci_u32_e64 v13, s0, 0, v13, s0
	v_cmp_ne_u32_e64 s0, 0, v12
	v_or_b32_e32 v21, 0x1000, v27
	v_med3_i32 v6, v6, 0, 13
	s_wait_alu 0xf1ff
	s_delay_alu instid0(VALU_DEP_3) | instskip(SKIP_1) | instid1(VALU_DEP_3)
	v_cndmask_b32_e64 v12, 0, 1, s0
	v_cmp_gt_i32_e64 s0, 31, v14
	v_lshrrev_b32_e32 v23, v6, v21
	v_and_or_b32 v10, 0x1ff, v11, v10
	s_delay_alu instid0(VALU_DEP_4)
	v_lshl_or_b32 v29, v12, 9, 0x7c00
	s_wait_alu 0xf1ff
	v_cndmask_b32_e64 v28, 0x7c00, v13, s0
	v_cvt_f64_f32_e32 v[12:13], v3
	v_lshlrev_b32_e32 v6, v6, v23
	v_cmp_eq_u32_e64 s0, 0x40f, v14
	v_and_or_b32 v3, 0x8000, v22, v20
	v_lshrrev_b32_e32 v20, 16, v5
	v_add_nc_u32_e32 v22, 0xfffffc10, v30
	s_wait_alu 0xf1ff
	v_cndmask_b32_e64 v14, v28, v29, s0
	v_cmp_ne_u32_e64 s0, v6, v21
	v_mul_f64_e32 v[5:6], s[10:11], v[18:19]
	v_lshrrev_b32_e32 v28, 8, v11
	v_bfe_u32 v18, v11, 20, 11
	v_and_or_b32 v14, 0x8000, v20, v14
	s_wait_alu 0xf1ff
	v_cndmask_b32_e64 v21, 0, 1, s0
	v_cmp_ne_u32_e64 s0, 0, v10
	v_lshl_or_b32 v20, v22, 12, v27
	v_and_b32_e32 v3, 0xffff, v3
	s_delay_alu instid0(VALU_DEP_4)
	v_or_b32_e32 v19, v23, v21
	s_wait_alu 0xf1ff
	v_cndmask_b32_e64 v10, 0, 1, s0
	v_sub_nc_u32_e32 v21, 0x3f1, v18
	v_cmp_gt_i32_e64 s0, 1, v22
	v_lshl_or_b32 v1, v14, 16, v3
	v_lshrrev_b32_e32 v23, 16, v15
	v_and_or_b32 v10, 0xffe, v28, v10
	v_med3_i32 v21, v21, 0, 13
	s_wait_alu 0xf1ff
	v_cndmask_b32_e64 v19, v20, v19, s0
	v_add_co_u32 v8, s0, v16, s4
	v_or_b32_e32 v20, 0x1000, v10
	s_wait_alu 0xf1ff
	v_add_co_ci_u32_e64 v9, s0, s5, v17, s0
	v_and_b32_e32 v3, 7, v19
	v_lshrrev_b32_e32 v17, 2, v19
	v_lshrrev_b32_e32 v14, v21, v20
	v_add_nc_u32_e32 v18, 0xfffffc10, v18
	global_store_b32 v[8:9], v1, off
	v_cmp_lt_i32_e64 s0, 5, v3
	v_cmp_eq_u32_e64 s1, 3, v3
	v_lshlrev_b32_e32 v16, v21, v14
	v_mul_f64_e32 v[12:13], s[10:11], v[12:13]
	v_mul_f16_e32 v3, v64, v23
	s_delay_alu instid0(VALU_DEP_4) | instskip(NEXT) | instid1(VALU_DEP_3)
	s_or_b32 s0, s1, s0
	v_cmp_ne_u32_e64 s2, v16, v20
	s_wait_alu 0xfffe
	v_add_co_ci_u32_e64 v19, s0, 0, v17, s0
	v_fmac_f16_e32 v3, v63, v15
	v_cmp_ne_u32_e64 s0, 0, v27
	s_wait_alu 0xf1ff
	v_cndmask_b32_e64 v16, 0, 1, s2
	v_lshl_or_b32 v20, v18, 12, v10
	v_and_or_b32 v5, 0x1ff, v6, v5
	v_cvt_f32_f16_e32 v3, v3
	v_cndmask_b32_e64 v21, 0, 1, s0
	v_or_b32_e32 v14, v14, v16
	v_cmp_gt_i32_e64 s0, 1, v18
	v_mul_f16_e32 v15, v64, v15
	v_cvt_f64_f32_e32 v[16:17], v3
	v_lshl_or_b32 v21, v21, 9, 0x7c00
	s_wait_alu 0xf1ff
	v_cndmask_b32_e64 v3, v20, v14, s0
	v_cmp_ne_u32_e64 s0, 0, v5
	v_lshrrev_b32_e32 v14, 8, v6
	v_bfe_u32 v20, v6, 20, 11
	v_fma_f16 v15, v63, v23, -v15
	v_and_b32_e32 v26, 7, v3
	s_wait_alu 0xf1ff
	v_cndmask_b32_e64 v5, 0, 1, s0
	v_cmp_gt_i32_e64 s0, 31, v22
	v_lshrrev_b32_e32 v3, 2, v3
	v_cvt_f32_f16_e32 v27, v15
	v_cmp_eq_u32_e64 s1, 3, v26
	v_and_or_b32 v5, 0xffe, v14, v5
	s_wait_alu 0xf1ff
	v_cndmask_b32_e64 v19, 0x7c00, v19, s0
	v_sub_nc_u32_e32 v14, 0x3f1, v20
	v_cmp_eq_u32_e64 s0, 0x40f, v22
	v_add_nc_u32_e32 v20, 0xfffffc10, v20
	v_lshrrev_b32_e32 v6, 16, v6
	s_delay_alu instid0(VALU_DEP_4)
	v_med3_i32 v14, v14, 0, 13
	s_wait_alu 0xf1ff
	v_cndmask_b32_e64 v19, v19, v21, s0
	v_or_b32_e32 v21, 0x1000, v5
	v_cmp_lt_i32_e64 s0, 5, v26
	v_and_or_b32 v12, 0x1ff, v13, v12
	v_lshrrev_b32_e32 v23, 8, v13
	v_bfe_u32 v26, v13, 20, 11
	v_lshrrev_b32_e32 v22, v14, v21
	s_or_b32 s0, s1, s0
	v_and_or_b32 v1, 0x8000, v7, v19
	s_wait_alu 0xfffe
	v_add_co_ci_u32_e64 v3, s0, 0, v3, s0
	v_lshlrev_b32_e32 v14, v14, v22
	v_cmp_ne_u32_e64 s0, 0, v12
	v_and_b32_e32 v19, 0xffff, v1
	v_lshrrev_b32_e32 v13, 16, v13
	s_wait_alu 0xf1ff
	s_delay_alu instid0(VALU_DEP_3) | instskip(SKIP_3) | instid1(VALU_DEP_4)
	v_cndmask_b32_e64 v12, 0, 1, s0
	v_cmp_ne_u32_e64 s0, v14, v21
	v_mul_f64_e32 v[14:15], s[10:11], v[16:17]
	v_cvt_f64_f32_e32 v[16:17], v27
	v_and_or_b32 v12, 0xffe, v23, v12
	s_wait_alu 0xf1ff
	v_cndmask_b32_e64 v21, 0, 1, s0
	v_cmp_ne_u32_e64 s0, 0, v10
	v_sub_nc_u32_e32 v23, 0x3f1, v26
	v_or_b32_e32 v27, 0x1000, v12
	s_delay_alu instid0(VALU_DEP_4)
	v_or_b32_e32 v21, v22, v21
	s_wait_alu 0xf1ff
	v_cndmask_b32_e64 v10, 0, 1, s0
	v_cmp_gt_i32_e64 s0, 31, v18
	v_lshl_or_b32 v22, v20, 12, v5
	v_med3_i32 v23, v23, 0, 13
	s_delay_alu instid0(VALU_DEP_4) | instskip(SKIP_4) | instid1(VALU_DEP_1)
	v_lshl_or_b32 v10, v10, 9, 0x7c00
	s_wait_alu 0xf1ff
	v_cndmask_b32_e64 v3, 0x7c00, v3, s0
	v_cmp_gt_i32_e64 s0, 1, v20
	s_wait_alu 0xf1ff
	v_cndmask_b32_e64 v21, v22, v21, s0
	v_lshrrev_b32_e32 v22, v23, v27
	v_cmp_eq_u32_e64 s0, 0x40f, v18
	s_delay_alu instid0(VALU_DEP_3) | instskip(NEXT) | instid1(VALU_DEP_3)
	v_lshrrev_b32_e32 v1, 2, v21
	v_lshlrev_b32_e32 v18, v23, v22
	s_wait_alu 0xf1ff
	s_delay_alu instid0(VALU_DEP_3)
	v_cndmask_b32_e64 v3, v3, v10, s0
	v_lshrrev_b32_e32 v10, 16, v11
	v_and_b32_e32 v11, 7, v21
	v_lshrrev_b32_e32 v21, 16, v4
	v_cmp_ne_u32_e64 s1, v18, v27
	v_add_nc_u32_e32 v18, 0xfffffc10, v26
	v_and_or_b32 v7, 0x8000, v10, v3
	v_cmp_lt_i32_e64 s0, 5, v11
	s_wait_alu 0xf1ff
	v_cndmask_b32_e64 v3, 0, 1, s1
	v_cmp_eq_u32_e64 s1, 3, v11
	v_lshl_or_b32 v10, v18, 12, v12
	v_and_or_b32 v14, 0x1ff, v15, v14
	v_bfe_u32 v23, v15, 20, 11
	v_or_b32_e32 v3, v22, v3
	s_or_b32 s0, s1, s0
	v_lshrrev_b32_e32 v22, 8, v15
	s_wait_alu 0xfffe
	v_add_co_ci_u32_e64 v1, s0, 0, v1, s0
	v_cmp_ne_u32_e64 s0, 0, v5
	v_lshrrev_b32_e32 v15, 16, v15
	s_wait_alu 0xf1ff
	s_delay_alu instid0(VALU_DEP_2) | instskip(SKIP_1) | instid1(VALU_DEP_2)
	v_cndmask_b32_e64 v5, 0, 1, s0
	v_cmp_gt_i32_e64 s0, 1, v18
	v_lshl_or_b32 v5, v5, 9, 0x7c00
	s_wait_alu 0xf1ff
	s_delay_alu instid0(VALU_DEP_2) | instskip(SKIP_3) | instid1(VALU_DEP_4)
	v_cndmask_b32_e64 v3, v10, v3, s0
	v_cmp_gt_i32_e64 s0, 31, v20
	v_mul_f64_e32 v[10:11], s[10:11], v[16:17]
	v_mul_f16_e32 v16, v62, v21
	v_and_b32_e32 v17, 7, v3
	s_wait_alu 0xf1ff
	v_cndmask_b32_e64 v1, 0x7c00, v1, s0
	v_cmp_ne_u32_e64 s0, 0, v14
	v_fmac_f16_e32 v16, v61, v4
	v_lshrrev_b32_e32 v3, 2, v3
	v_cmp_eq_u32_e64 s1, 3, v17
	s_wait_alu 0xf1ff
	v_cndmask_b32_e64 v14, 0, 1, s0
	v_cmp_eq_u32_e64 s0, 0x40f, v20
	v_sub_nc_u32_e32 v20, 0x3f1, v23
	s_delay_alu instid0(VALU_DEP_3) | instskip(SKIP_1) | instid1(VALU_DEP_3)
	v_and_or_b32 v14, 0xffe, v22, v14
	s_wait_alu 0xf1ff
	v_cndmask_b32_e64 v1, v1, v5, s0
	v_cvt_f32_f16_e32 v5, v16
	v_cmp_lt_i32_e64 s0, 5, v17
	v_med3_i32 v20, v20, 0, 13
	s_delay_alu instid0(VALU_DEP_4) | instskip(NEXT) | instid1(VALU_DEP_4)
	v_and_or_b32 v26, 0x8000, v6, v1
	v_cvt_f64_f32_e32 v[16:17], v5
	s_delay_alu instid0(VALU_DEP_4)
	s_or_b32 s0, s1, s0
	v_or_b32_e32 v5, 0x1000, v14
	s_wait_alu 0xfffe
	v_add_co_ci_u32_e64 v3, s0, 0, v3, s0
	v_cmp_ne_u32_e64 s0, 0, v12
	v_mul_f16_e32 v1, v62, v4
	v_lshrrev_b32_e32 v22, v20, v5
	s_wait_alu 0xf1ff
	s_delay_alu instid0(VALU_DEP_3) | instskip(SKIP_1) | instid1(VALU_DEP_3)
	v_cndmask_b32_e64 v12, 0, 1, s0
	v_cmp_gt_i32_e64 s0, 31, v18
	v_lshlrev_b32_e32 v4, v20, v22
	v_fma_f16 v1, v61, v21, -v1
	s_delay_alu instid0(VALU_DEP_4)
	v_lshl_or_b32 v12, v12, 9, 0x7c00
	s_wait_alu 0xf1ff
	v_cndmask_b32_e64 v3, 0x7c00, v3, s0
	v_cmp_eq_u32_e64 s0, 0x40f, v18
	v_cvt_f32_f16_e32 v1, v1
	v_add_nc_u32_e32 v18, 0xfffffc10, v23
	v_bfe_u32 v20, v11, 20, 11
	s_wait_alu 0xf1ff
	v_cndmask_b32_e64 v12, v3, v12, s0
	v_and_or_b32 v3, 0x1ff, v11, v10
	v_cmp_ne_u32_e64 s0, v4, v5
	v_lshrrev_b32_e32 v10, 8, v11
	v_lshl_or_b32 v21, v18, 12, v14
	v_and_or_b32 v12, 0x8000, v13, v12
	v_and_b32_e32 v13, 0xffff, v26
	s_wait_alu 0xf1ff
	v_cndmask_b32_e64 v5, 0, 1, s0
	v_cmp_ne_u32_e64 s0, 0, v3
	v_cvt_f64_f32_e32 v[3:4], v1
	ds_load_2addr_b32 v[1:2], v2 offset0:120 offset1:232
	v_lshl_or_b32 v26, v12, 16, v13
	v_or_b32_e32 v5, v22, v5
	s_wait_alu 0xf1ff
	v_cndmask_b32_e64 v6, 0, 1, s0
	v_cmp_gt_i32_e64 s0, 1, v18
	v_lshrrev_b32_e32 v11, 16, v11
	s_delay_alu instid0(VALU_DEP_3)
	v_and_or_b32 v22, 0xffe, v10, v6
	v_sub_nc_u32_e32 v10, 0x3f1, v20
	s_wait_alu 0xf1ff
	v_cndmask_b32_e64 v21, v21, v5, s0
	v_mul_f64_e32 v[5:6], s[10:11], v[16:17]
	v_lshl_or_b32 v17, v7, 16, v19
	v_or_b32_e32 v16, 0x1000, v22
	v_med3_i32 v10, v10, 0, 13
	v_and_b32_e32 v19, 7, v21
	v_add_co_u32 v7, s0, v8, s6
	s_wait_alu 0xf1ff
	v_add_co_ci_u32_e64 v8, s0, s7, v9, s0
	v_lshrrev_b32_e32 v23, v10, v16
	v_cmp_lt_i32_e64 s0, 5, v19
	v_cmp_eq_u32_e64 s1, 3, v19
	s_wait_dscnt 0x0
	v_lshrrev_b32_e32 v19, 16, v1
	v_lshlrev_b32_e32 v9, v10, v23
	v_lshrrev_b32_e32 v10, 2, v21
	s_or_b32 s0, s1, s0
	s_delay_alu instid0(VALU_DEP_3) | instskip(NEXT) | instid1(VALU_DEP_3)
	v_mul_f16_e32 v12, v60, v19
	v_cmp_ne_u32_e64 s2, v9, v16
	s_wait_alu 0xfffe
	v_add_co_ci_u32_e64 v10, s0, 0, v10, s0
	v_add_nc_u32_e32 v16, 0xfffffc10, v20
	v_cmp_ne_u32_e64 s0, 0, v14
	s_wait_alu 0xf1ff
	v_cndmask_b32_e64 v9, 0, 1, s2
	v_fmac_f16_e32 v12, v59, v1
	v_mul_f64_e32 v[3:4], s[10:11], v[3:4]
	v_lshl_or_b32 v13, v16, 12, v22
	v_cndmask_b32_e64 v14, 0, 1, s0
	v_or_b32_e32 v9, v23, v9
	v_cmp_gt_i32_e64 s0, 1, v16
	v_mul_f16_e32 v1, v60, v1
	s_delay_alu instid0(VALU_DEP_4) | instskip(SKIP_1) | instid1(VALU_DEP_3)
	v_lshl_or_b32 v14, v14, 9, 0x7c00
	s_wait_alu 0xf1ff
	v_cndmask_b32_e64 v20, v13, v9, s0
	v_cvt_f32_f16_e32 v9, v12
	v_cmp_gt_i32_e64 s0, 31, v18
	v_and_or_b32 v5, 0x1ff, v6, v5
	v_fma_f16 v1, v59, v19, -v1
	v_and_b32_e32 v23, 7, v20
	v_lshrrev_b32_e32 v20, 2, v20
	s_wait_alu 0xf1ff
	v_cndmask_b32_e64 v21, 0x7c00, v10, s0
	v_cvt_f64_f32_e32 v[9:10], v9
	v_add_co_u32 v12, s0, v7, s4
	s_wait_alu 0xf1ff
	v_add_co_ci_u32_e64 v13, s0, s5, v8, s0
	v_cmp_eq_u32_e64 s0, 0x40f, v18
	v_cmp_ne_u32_e64 s1, 0, v5
	v_lshrrev_b32_e32 v18, 8, v6
	v_cvt_f32_f16_e32 v1, v1
	global_store_b32 v[7:8], v17, off
	global_store_b32 v[12:13], v26, off
	s_wait_alu 0xf1ff
	v_cndmask_b32_e64 v14, v21, v14, s0
	v_cmp_lt_i32_e64 s0, 5, v23
	v_cndmask_b32_e64 v5, 0, 1, s1
	v_cmp_eq_u32_e64 s1, 3, v23
	v_bfe_u32 v21, v6, 20, 11
	v_and_or_b32 v27, 0x8000, v15, v14
	v_lshrrev_b32_e32 v17, 16, v0
	v_and_or_b32 v5, 0xffe, v18, v5
	s_or_b32 s0, s1, s0
	v_sub_nc_u32_e32 v18, 0x3f1, v21
	s_wait_alu 0xfffe
	v_add_co_ci_u32_e64 v20, s0, 0, v20, s0
	v_cmp_ne_u32_e64 s0, 0, v22
	v_or_b32_e32 v23, 0x1000, v5
	v_med3_i32 v18, v18, 0, 13
	v_and_or_b32 v3, 0x1ff, v4, v3
	v_add_nc_u32_e32 v19, 0xfffffc10, v21
	s_wait_alu 0xf1ff
	v_cndmask_b32_e64 v22, 0, 1, s0
	v_cmp_gt_i32_e64 s0, 31, v16
	v_lshrrev_b32_e32 v14, v18, v23
	v_lshrrev_b32_e32 v6, 16, v6
	v_cmp_eq_u32_e64 s2, 0x40f, v19
	v_lshl_or_b32 v22, v22, 9, 0x7c00
	s_wait_alu 0xf1ff
	v_cndmask_b32_e64 v20, 0x7c00, v20, s0
	v_cmp_eq_u32_e64 s0, 0x40f, v16
	v_lshlrev_b32_e32 v15, v18, v14
	v_lshrrev_b32_e32 v18, 8, v4
	v_mul_f64_e32 v[9:10], s[10:11], v[9:10]
	s_wait_alu 0xf1ff
	v_cndmask_b32_e64 v16, v20, v22, s0
	v_cmp_ne_u32_e64 s0, 0, v3
	v_bfe_u32 v20, v4, 20, 11
	v_lshl_or_b32 v22, v19, 12, v5
	v_lshrrev_b32_e32 v4, 16, v4
	v_and_or_b32 v11, 0x8000, v11, v16
	s_wait_alu 0xf1ff
	v_cndmask_b32_e64 v3, 0, 1, s0
	v_cmp_ne_u32_e64 s0, v15, v23
	v_and_b32_e32 v16, 0xffff, v27
	s_delay_alu instid0(VALU_DEP_3) | instskip(SKIP_1) | instid1(VALU_DEP_3)
	v_and_or_b32 v3, 0xffe, v18, v3
	s_wait_alu 0xf1ff
	v_cndmask_b32_e64 v15, 0, 1, s0
	v_sub_nc_u32_e32 v18, 0x3f1, v20
	v_cmp_gt_i32_e64 s0, 1, v19
	v_lshl_or_b32 v16, v11, 16, v16
	v_or_b32_e32 v23, 0x1000, v3
	v_or_b32_e32 v21, v14, v15
	v_cvt_f64_f32_e32 v[14:15], v1
	v_med3_i32 v1, v18, 0, 13
	v_add_nc_u32_e32 v20, 0xfffffc10, v20
	s_wait_alu 0xf1ff
	v_cndmask_b32_e64 v18, v22, v21, s0
	v_add_co_u32 v7, s0, v12, s6
	v_lshrrev_b32_e32 v21, v1, v23
	s_wait_alu 0xf1ff
	v_add_co_ci_u32_e64 v8, s0, s7, v13, s0
	v_and_b32_e32 v11, 7, v18
	v_mul_f16_e32 v12, v58, v17
	v_lshlrev_b32_e32 v1, v1, v21
	v_lshl_or_b32 v13, v20, 12, v3
	s_delay_alu instid0(VALU_DEP_4) | instskip(NEXT) | instid1(VALU_DEP_4)
	v_cmp_lt_i32_e64 s0, 5, v11
	v_fmac_f16_e32 v12, v57, v0
	s_delay_alu instid0(VALU_DEP_4) | instskip(SKIP_2) | instid1(VALU_DEP_2)
	v_cmp_ne_u32_e64 s1, v1, v23
	v_and_or_b32 v9, 0x1ff, v10, v9
	s_wait_alu 0xf1ff
	v_cndmask_b32_e64 v1, 0, 1, s1
	v_cmp_eq_u32_e64 s1, 3, v11
	v_lshrrev_b32_e32 v11, 2, v18
	s_delay_alu instid0(VALU_DEP_3) | instskip(NEXT) | instid1(VALU_DEP_3)
	v_or_b32_e32 v1, v21, v1
	s_or_b32 s0, s1, s0
	v_lshrrev_b32_e32 v21, 8, v10
	s_wait_alu 0xfffe
	v_add_co_ci_u32_e64 v18, s0, 0, v11, s0
	v_cmp_gt_i32_e64 s0, 1, v20
	v_cvt_f32_f16_e32 v11, v12
	s_wait_alu 0xf1ff
	s_delay_alu instid0(VALU_DEP_2) | instskip(SKIP_1) | instid1(VALU_DEP_3)
	v_cndmask_b32_e64 v1, v13, v1, s0
	v_cmp_ne_u32_e64 s0, 0, v9
	v_cvt_f64_f32_e32 v[11:12], v11
	v_mul_f64_e32 v[13:14], s[10:11], v[14:15]
	v_bfe_u32 v15, v10, 20, 11
	v_and_b32_e32 v22, 7, v1
	s_wait_alu 0xf1ff
	v_cndmask_b32_e64 v9, 0, 1, s0
	v_cmp_ne_u32_e64 s0, 0, v5
	v_lshrrev_b32_e32 v1, 2, v1
	v_cmp_eq_u32_e64 s1, 3, v22
	s_delay_alu instid0(VALU_DEP_4)
	v_and_or_b32 v9, 0xffe, v21, v9
	s_wait_alu 0xf1ff
	v_cndmask_b32_e64 v5, 0, 1, s0
	v_cmp_gt_i32_e64 s0, 31, v19
	v_sub_nc_u32_e32 v21, 0x3f1, v15
	v_add_nc_u32_e32 v15, 0xfffffc10, v15
	v_or_b32_e32 v23, 0x1000, v9
	v_lshl_or_b32 v5, v5, 9, 0x7c00
	s_wait_alu 0xf1ff
	v_cndmask_b32_e64 v18, 0x7c00, v18, s0
	v_cmp_lt_i32_e64 s0, 5, v22
	v_med3_i32 v21, v21, 0, 13
	s_delay_alu instid0(VALU_DEP_3) | instskip(NEXT) | instid1(VALU_DEP_3)
	v_cndmask_b32_e64 v5, v18, v5, s2
	s_or_b32 s0, s1, s0
	s_delay_alu instid0(VALU_DEP_2)
	v_lshrrev_b32_e32 v18, v21, v23
	s_wait_alu 0xfffe
	v_add_co_ci_u32_e64 v1, s0, 0, v1, s0
	v_cmp_ne_u32_e64 s0, 0, v3
	v_and_or_b32 v5, 0x8000, v6, v5
	v_lshlrev_b32_e32 v19, v21, v18
	s_wait_alu 0xf1ff
	s_delay_alu instid0(VALU_DEP_3) | instskip(SKIP_2) | instid1(VALU_DEP_3)
	v_cndmask_b32_e64 v3, 0, 1, s0
	v_cmp_gt_i32_e64 s0, 31, v20
	v_and_b32_e32 v5, 0xffff, v5
	v_lshl_or_b32 v3, v3, 9, 0x7c00
	s_wait_alu 0xf1ff
	s_delay_alu instid0(VALU_DEP_3) | instskip(SKIP_2) | instid1(VALU_DEP_1)
	v_cndmask_b32_e64 v1, 0x7c00, v1, s0
	v_cmp_ne_u32_e64 s0, v19, v23
	s_wait_alu 0xf1ff
	v_cndmask_b32_e64 v19, 0, 1, s0
	v_cmp_eq_u32_e64 s0, 0x40f, v20
	s_delay_alu instid0(VALU_DEP_2) | instskip(SKIP_2) | instid1(VALU_DEP_3)
	v_or_b32_e32 v6, v18, v19
	v_mul_f16_e32 v18, v58, v0
	s_wait_alu 0xf1ff
	v_cndmask_b32_e64 v3, v1, v3, s0
	v_mul_f64_e32 v[0:1], s[10:11], v[11:12]
	v_lshl_or_b32 v11, v15, 12, v9
	v_and_or_b32 v12, 0x1ff, v14, v13
	v_cmp_gt_i32_e64 s0, 1, v15
	v_fma_f16 v13, v57, v17, -v18
	v_bfe_u32 v17, v14, 20, 11
	v_and_or_b32 v18, 0x8000, v4, v3
	s_wait_alu 0xf1ff
	v_cndmask_b32_e64 v6, v11, v6, s0
	v_cmp_ne_u32_e64 s0, 0, v12
	v_cvt_f32_f16_e32 v12, v13
	v_lshrrev_b32_e32 v13, 8, v14
	v_lshl_or_b32 v18, v18, 16, v5
	v_and_b32_e32 v19, 7, v6
	s_wait_alu 0xf1ff
	v_cndmask_b32_e64 v11, 0, 1, s0
	v_cvt_f64_f32_e32 v[3:4], v12
	v_lshrrev_b32_e32 v12, 16, v2
	v_lshrrev_b32_e32 v5, 2, v6
	v_cmp_lt_i32_e64 s0, 5, v19
	v_and_or_b32 v13, 0xffe, v13, v11
	v_sub_nc_u32_e32 v11, 0x3f1, v17
	v_cmp_eq_u32_e64 s1, 3, v19
	v_mul_f16_e32 v21, v56, v12
	v_add_nc_u32_e32 v17, 0xfffffc10, v17
	v_or_b32_e32 v20, 0x1000, v13
	v_med3_i32 v11, v11, 0, 13
	s_or_b32 s0, s1, s0
	v_fmac_f16_e32 v21, v55, v2
	s_wait_alu 0xfffe
	v_add_co_ci_u32_e64 v5, s0, 0, v5, s0
	v_lshrrev_b32_e32 v19, v11, v20
	v_cmp_ne_u32_e64 s0, 0, v9
	v_mul_f16_e32 v2, v56, v2
	s_delay_alu instid0(VALU_DEP_3) | instskip(SKIP_1) | instid1(VALU_DEP_3)
	v_lshlrev_b32_e32 v9, v11, v19
	s_wait_alu 0xf1ff
	v_cndmask_b32_e64 v6, 0, 1, s0
	v_cvt_f32_f16_e32 v11, v21
	v_cmp_gt_i32_e64 s0, 31, v15
	v_and_or_b32 v0, 0x1ff, v1, v0
	v_fma_f16 v12, v55, v12, -v2
	v_lshl_or_b32 v22, v6, 9, 0x7c00
	s_wait_alu 0xf1ff
	v_cndmask_b32_e64 v21, 0x7c00, v5, s0
	v_cvt_f64_f32_e32 v[5:6], v11
	v_cmp_ne_u32_e64 s0, v9, v20
	v_lshrrev_b32_e32 v11, 8, v1
	v_lshl_or_b32 v20, v17, 12, v13
	s_wait_alu 0xf1ff
	s_delay_alu instid0(VALU_DEP_3) | instskip(SKIP_2) | instid1(VALU_DEP_3)
	v_cndmask_b32_e64 v9, 0, 1, s0
	v_cmp_ne_u32_e64 s0, 0, v0
	v_mul_f64_e32 v[2:3], s[10:11], v[3:4]
	v_or_b32_e32 v9, v19, v9
	s_wait_alu 0xf1ff
	s_delay_alu instid0(VALU_DEP_3) | instskip(SKIP_3) | instid1(VALU_DEP_4)
	v_cndmask_b32_e64 v0, 0, 1, s0
	v_bfe_u32 v19, v1, 20, 11
	v_cmp_gt_i32_e64 s0, 1, v17
	v_lshrrev_b32_e32 v1, 16, v1
	v_and_or_b32 v0, 0xffe, v11, v0
	s_delay_alu instid0(VALU_DEP_4)
	v_sub_nc_u32_e32 v4, 0x3f1, v19
	s_wait_alu 0xf1ff
	v_cndmask_b32_e64 v20, v20, v9, s0
	v_cmp_eq_u32_e64 s0, 0x40f, v15
	v_cvt_f32_f16_e32 v11, v12
	v_or_b32_e32 v23, 0x1000, v0
	v_med3_i32 v4, v4, 0, 13
	v_add_nc_u32_e32 v19, 0xfffffc10, v19
	s_wait_alu 0xf1ff
	v_cndmask_b32_e64 v15, v21, v22, s0
	v_and_b32_e32 v22, 7, v20
	v_cvt_f64_f32_e32 v[11:12], v11
	v_lshrrev_b32_e32 v26, v4, v23
	v_add_co_u32 v9, s0, v7, s4
	v_lshrrev_b32_e32 v21, 16, v10
	s_wait_alu 0xf1ff
	v_add_co_ci_u32_e64 v10, s0, s5, v8, s0
	v_cmp_lt_i32_e64 s0, 5, v22
	v_cmp_eq_u32_e64 s1, 3, v22
	v_lshlrev_b32_e32 v4, v4, v26
	v_lshrrev_b32_e32 v20, 2, v20
	v_and_or_b32 v15, 0x8000, v21, v15
	s_delay_alu instid0(VALU_DEP_4) | instskip(NEXT) | instid1(VALU_DEP_3)
	s_or_b32 s0, s1, s0
	v_cmp_ne_u32_e64 s2, v4, v23
	v_mul_f64_e32 v[4:5], s[10:11], v[5:6]
	s_wait_alu 0xfffe
	v_add_co_ci_u32_e64 v6, s0, 0, v20, s0
	v_cmp_ne_u32_e64 s0, 0, v13
	s_wait_alu 0xf1ff
	v_cndmask_b32_e64 v21, 0, 1, s2
	v_and_or_b32 v2, 0x1ff, v3, v2
	s_delay_alu instid0(VALU_DEP_3) | instskip(SKIP_1) | instid1(VALU_DEP_4)
	v_cndmask_b32_e64 v13, 0, 1, s0
	v_cmp_gt_i32_e64 s0, 31, v17
	v_or_b32_e32 v20, v26, v21
	v_lshl_or_b32 v21, v19, 12, v0
	s_delay_alu instid0(VALU_DEP_4) | instskip(SKIP_4) | instid1(VALU_DEP_1)
	v_lshl_or_b32 v13, v13, 9, 0x7c00
	s_wait_alu 0xf1ff
	v_cndmask_b32_e64 v6, 0x7c00, v6, s0
	v_cmp_gt_i32_e64 s0, 1, v19
	s_wait_alu 0xf1ff
	v_cndmask_b32_e64 v20, v21, v20, s0
	v_cmp_eq_u32_e64 s0, 0x40f, v17
	v_lshrrev_b32_e32 v17, 8, v3
	v_mul_f64_e32 v[11:12], s[10:11], v[11:12]
	v_bfe_u32 v21, v3, 20, 11
	v_lshrrev_b32_e32 v3, 16, v3
	s_wait_alu 0xf1ff
	v_cndmask_b32_e64 v6, v6, v13, s0
	v_lshrrev_b32_e32 v13, 16, v14
	v_cmp_ne_u32_e64 s0, 0, v2
	v_and_b32_e32 v14, 7, v20
	s_delay_alu instid0(VALU_DEP_3)
	v_and_or_b32 v6, 0x8000, v13, v6
	v_and_b32_e32 v13, 0xffff, v15
	s_wait_alu 0xf1ff
	v_cndmask_b32_e64 v2, 0, 1, s0
	v_cmp_lt_i32_e64 s0, 5, v14
	v_cmp_eq_u32_e64 s1, 3, v14
	v_sub_nc_u32_e32 v15, 0x3f1, v21
	v_lshl_or_b32 v6, v6, 16, v13
	v_lshrrev_b32_e32 v13, 2, v20
	v_and_or_b32 v2, 0xffe, v17, v2
	s_or_b32 s0, s1, s0
	v_med3_i32 v15, v15, 0, 13
	v_and_or_b32 v4, 0x1ff, v5, v4
	s_wait_alu 0xfffe
	v_add_co_ci_u32_e64 v13, s0, 0, v13, s0
	v_or_b32_e32 v14, 0x1000, v2
	v_cmp_ne_u32_e64 s0, 0, v0
	v_lshrrev_b32_e32 v20, 8, v5
	v_bfe_u32 v22, v5, 20, 11
	v_lshrrev_b32_e32 v5, 16, v5
	v_lshrrev_b32_e32 v17, v15, v14
	s_wait_alu 0xf1ff
	v_cndmask_b32_e64 v0, 0, 1, s0
	v_cmp_gt_i32_e64 s0, 31, v19
	s_delay_alu instid0(VALU_DEP_3) | instskip(NEXT) | instid1(VALU_DEP_3)
	v_lshlrev_b32_e32 v15, v15, v17
	v_lshl_or_b32 v0, v0, 9, 0x7c00
	s_wait_alu 0xf1ff
	s_delay_alu instid0(VALU_DEP_3) | instskip(SKIP_3) | instid1(VALU_DEP_2)
	v_cndmask_b32_e64 v13, 0x7c00, v13, s0
	v_cmp_ne_u32_e64 s0, 0, v4
	v_and_or_b32 v11, 0x1ff, v12, v11
	s_wait_alu 0xf1ff
	v_cndmask_b32_e64 v4, 0, 1, s0
	v_cmp_ne_u32_e64 s0, v15, v14
	v_add_nc_u32_e32 v15, 0xfffffc10, v21
	v_bfe_u32 v21, v12, 20, 11
	s_delay_alu instid0(VALU_DEP_4) | instskip(SKIP_4) | instid1(VALU_DEP_2)
	v_and_or_b32 v4, 0xffe, v20, v4
	s_wait_alu 0xf1ff
	v_cndmask_b32_e64 v14, 0, 1, s0
	v_sub_nc_u32_e32 v20, 0x3f1, v22
	v_cmp_eq_u32_e64 s0, 0x40f, v19
	v_med3_i32 v19, v20, 0, 13
	s_wait_alu 0xf1ff
	s_delay_alu instid0(VALU_DEP_2)
	v_cndmask_b32_e64 v0, v13, v0, s0
	v_or_b32_e32 v13, v17, v14
	v_lshl_or_b32 v14, v15, 12, v2
	v_or_b32_e32 v17, 0x1000, v4
	v_cmp_gt_i32_e64 s0, 1, v15
	v_lshrrev_b32_e32 v20, 8, v12
	v_and_or_b32 v0, 0x8000, v1, v0
	s_wait_alu 0xf1ff
	s_delay_alu instid0(VALU_DEP_3) | instskip(SKIP_3) | instid1(VALU_DEP_4)
	v_cndmask_b32_e64 v13, v14, v13, s0
	v_lshrrev_b32_e32 v14, v19, v17
	v_cmp_ne_u32_e64 s0, 0, v11
	v_and_b32_e32 v0, 0xffff, v0
	v_and_b32_e32 v23, 7, v13
	s_delay_alu instid0(VALU_DEP_4)
	v_lshlrev_b32_e32 v19, v19, v14
	s_wait_alu 0xf1ff
	v_cndmask_b32_e64 v11, 0, 1, s0
	v_lshrrev_b32_e32 v13, 2, v13
	v_cmp_lt_i32_e64 s0, 5, v23
	v_cmp_ne_u32_e64 s1, v19, v17
	s_delay_alu instid0(VALU_DEP_4)
	v_and_or_b32 v1, 0xffe, v20, v11
	v_sub_nc_u32_e32 v11, 0x3f1, v21
	v_add_nc_u32_e32 v20, 0xfffffc10, v22
	s_wait_alu 0xf1ff
	v_cndmask_b32_e64 v17, 0, 1, s1
	v_cmp_eq_u32_e64 s1, 3, v23
	v_or_b32_e32 v19, 0x1000, v1
	v_med3_i32 v11, v11, 0, 13
	v_lshl_or_b32 v22, v20, 12, v4
	v_or_b32_e32 v14, v14, v17
	s_or_b32 s0, s1, s0
	s_wait_alu 0xfffe
	v_add_co_ci_u32_e64 v13, s0, 0, v13, s0
	v_lshrrev_b32_e32 v17, v11, v19
	v_cmp_gt_i32_e64 s0, 1, v20
	s_delay_alu instid0(VALU_DEP_2) | instskip(SKIP_1) | instid1(VALU_DEP_2)
	v_lshlrev_b32_e32 v11, v11, v17
	s_wait_alu 0xf1ff
	v_cndmask_b32_e64 v14, v22, v14, s0
	v_cmp_ne_u32_e64 s0, 0, v2
	s_wait_alu 0xf1ff
	s_delay_alu instid0(VALU_DEP_1) | instskip(SKIP_3) | instid1(VALU_DEP_4)
	v_cndmask_b32_e64 v2, 0, 1, s0
	v_cmp_ne_u32_e64 s0, v11, v19
	v_add_nc_u32_e32 v19, 0xfffffc10, v21
	v_and_b32_e32 v21, 7, v14
	v_lshl_or_b32 v2, v2, 9, 0x7c00
	s_wait_alu 0xf1ff
	v_cndmask_b32_e64 v11, 0, 1, s0
	v_cmp_gt_i32_e64 s0, 31, v15
	v_cmp_gt_i32_e64 s2, 1, v19
	v_cmp_eq_u32_e64 s1, 3, v21
	s_delay_alu instid0(VALU_DEP_4) | instskip(SKIP_4) | instid1(VALU_DEP_3)
	v_or_b32_e32 v11, v17, v11
	v_lshl_or_b32 v17, v19, 12, v1
	s_wait_alu 0xf1ff
	v_cndmask_b32_e64 v13, 0x7c00, v13, s0
	v_cmp_lt_i32_e64 s0, 5, v21
	v_cndmask_b32_e64 v11, v17, v11, s2
	v_cmp_eq_u32_e64 s2, 0x40f, v15
	s_delay_alu instid0(VALU_DEP_3) | instskip(NEXT) | instid1(VALU_DEP_1)
	s_or_b32 s0, s1, s0
	v_cndmask_b32_e64 v2, v13, v2, s2
	v_lshrrev_b32_e32 v13, 2, v14
	v_and_b32_e32 v14, 7, v11
	v_lshrrev_b32_e32 v11, 2, v11
	v_cmp_gt_i32_e64 s2, 31, v20
	s_wait_alu 0xfffe
	v_add_co_ci_u32_e64 v13, s0, 0, v13, s0
	v_cmp_ne_u32_e64 s0, 0, v4
	v_cmp_eq_u32_e64 s1, 3, v14
	s_wait_alu 0xf1ff
	s_delay_alu instid0(VALU_DEP_3) | instskip(NEXT) | instid1(VALU_DEP_3)
	v_cndmask_b32_e64 v13, 0x7c00, v13, s2
	v_cndmask_b32_e64 v4, 0, 1, s0
	v_cmp_lt_i32_e64 s0, 5, v14
	s_delay_alu instid0(VALU_DEP_2) | instskip(NEXT) | instid1(VALU_DEP_2)
	v_lshl_or_b32 v4, v4, 9, 0x7c00
	s_or_b32 s0, s1, s0
	s_wait_alu 0xfffe
	v_add_co_ci_u32_e64 v11, s0, 0, v11, s0
	v_cmp_ne_u32_e64 s0, 0, v1
	s_wait_alu 0xf1ff
	s_delay_alu instid0(VALU_DEP_1) | instskip(SKIP_1) | instid1(VALU_DEP_2)
	v_cndmask_b32_e64 v1, 0, 1, s0
	v_cmp_eq_u32_e64 s0, 0x40f, v20
	v_lshl_or_b32 v1, v1, 9, 0x7c00
	s_wait_alu 0xf1ff
	s_delay_alu instid0(VALU_DEP_2) | instskip(SKIP_2) | instid1(VALU_DEP_3)
	v_cndmask_b32_e64 v4, v13, v4, s0
	v_cmp_gt_i32_e64 s0, 31, v19
	v_and_or_b32 v13, 0x8000, v3, v2
	v_and_or_b32 v4, 0x8000, v5, v4
	s_wait_alu 0xf1ff
	s_delay_alu instid0(VALU_DEP_3) | instskip(SKIP_3) | instid1(VALU_DEP_2)
	v_cndmask_b32_e64 v11, 0x7c00, v11, s0
	v_cmp_eq_u32_e64 s0, 0x40f, v19
	v_lshrrev_b32_e32 v5, 16, v12
	s_wait_alu 0xf1ff
	v_cndmask_b32_e64 v1, v11, v1, s0
	v_add_co_u32 v2, s0, v9, s6
	s_wait_alu 0xf1ff
	v_add_co_ci_u32_e64 v3, s0, s7, v10, s0
	v_lshl_or_b32 v11, v13, 16, v0
	v_and_or_b32 v0, 0x8000, v5, v1
	v_and_b32_e32 v1, 0xffff, v4
	v_add_co_u32 v4, s0, v2, s4
	s_wait_alu 0xf1ff
	v_add_co_ci_u32_e64 v5, s0, s5, v3, s0
	s_delay_alu instid0(VALU_DEP_3) | instskip(NEXT) | instid1(VALU_DEP_3)
	v_lshl_or_b32 v12, v0, 16, v1
	v_add_co_u32 v0, s0, v4, s6
	s_wait_alu 0xf1ff
	s_delay_alu instid0(VALU_DEP_3)
	v_add_co_ci_u32_e64 v1, s0, s7, v5, s0
	global_store_b32 v[7:8], v16, off
	global_store_b32 v[9:10], v18, off
	;; [unrolled: 1-line block ×5, first 2 shown]
	s_and_b32 exec_lo, exec_lo, vcc_lo
	s_cbranch_execz .LBB0_47
; %bb.46:
	global_load_b32 v2, v[24:25], off offset:3136
	ds_load_b32 v3, v54 offset:3136
	ds_load_b32 v6, v54 offset:6496
	s_wait_dscnt 0x1
	v_lshrrev_b32_e32 v4, 16, v3
	s_wait_loadcnt 0x0
	v_lshrrev_b32_e32 v5, 16, v2
	s_delay_alu instid0(VALU_DEP_1) | instskip(SKIP_1) | instid1(VALU_DEP_2)
	v_mul_f16_e32 v7, v4, v5
	v_mul_f16_e32 v5, v3, v5
	v_fmac_f16_e32 v7, v3, v2
	s_delay_alu instid0(VALU_DEP_2) | instskip(NEXT) | instid1(VALU_DEP_2)
	v_fma_f16 v2, v2, v4, -v5
	v_cvt_f32_f16_e32 v3, v7
	s_delay_alu instid0(VALU_DEP_2) | instskip(NEXT) | instid1(VALU_DEP_2)
	v_cvt_f32_f16_e32 v4, v2
	v_cvt_f64_f32_e32 v[2:3], v3
	s_delay_alu instid0(VALU_DEP_2) | instskip(NEXT) | instid1(VALU_DEP_2)
	v_cvt_f64_f32_e32 v[4:5], v4
	v_mul_f64_e32 v[2:3], s[10:11], v[2:3]
	s_delay_alu instid0(VALU_DEP_2) | instskip(NEXT) | instid1(VALU_DEP_2)
	v_mul_f64_e32 v[4:5], s[10:11], v[4:5]
	v_and_or_b32 v2, 0x1ff, v3, v2
	s_delay_alu instid0(VALU_DEP_2)
	v_and_or_b32 v4, 0x1ff, v5, v4
	v_lshrrev_b32_e32 v7, 8, v3
	v_bfe_u32 v8, v3, 20, 11
	v_lshrrev_b32_e32 v9, 8, v5
	v_cmp_ne_u32_e32 vcc_lo, 0, v2
	v_bfe_u32 v10, v5, 20, 11
	v_lshrrev_b32_e32 v3, 16, v3
	v_sub_nc_u32_e32 v11, 0x3f1, v8
	v_lshrrev_b32_e32 v5, 16, v5
	s_wait_alu 0xfffd
	v_cndmask_b32_e64 v2, 0, 1, vcc_lo
	v_cmp_ne_u32_e32 vcc_lo, 0, v4
	s_delay_alu instid0(VALU_DEP_2) | instskip(SKIP_3) | instid1(VALU_DEP_2)
	v_and_or_b32 v2, 0xffe, v7, v2
	s_wait_alu 0xfffd
	v_cndmask_b32_e64 v4, 0, 1, vcc_lo
	v_sub_nc_u32_e32 v7, 0x3f1, v10
	v_and_or_b32 v4, 0xffe, v9, v4
	v_med3_i32 v9, v11, 0, 13
	v_or_b32_e32 v11, 0x1000, v2
	s_delay_alu instid0(VALU_DEP_4) | instskip(NEXT) | instid1(VALU_DEP_4)
	v_med3_i32 v7, v7, 0, 13
	v_or_b32_e32 v12, 0x1000, v4
	s_delay_alu instid0(VALU_DEP_3) | instskip(NEXT) | instid1(VALU_DEP_2)
	v_lshrrev_b32_e32 v13, v9, v11
	v_lshrrev_b32_e32 v14, v7, v12
	s_delay_alu instid0(VALU_DEP_2) | instskip(NEXT) | instid1(VALU_DEP_2)
	v_lshlrev_b32_e32 v9, v9, v13
	v_lshlrev_b32_e32 v7, v7, v14
	s_delay_alu instid0(VALU_DEP_2) | instskip(SKIP_2) | instid1(VALU_DEP_3)
	v_cmp_ne_u32_e32 vcc_lo, v9, v11
	s_wait_alu 0xfffd
	v_cndmask_b32_e64 v9, 0, 1, vcc_lo
	v_cmp_ne_u32_e32 vcc_lo, v7, v12
	s_delay_alu instid0(VALU_DEP_2) | instskip(SKIP_3) | instid1(VALU_DEP_2)
	v_or_b32_e32 v9, v13, v9
	v_add_nc_u32_e32 v8, 0xfffffc10, v8
	s_wait_alu 0xfffd
	v_cndmask_b32_e64 v7, 0, 1, vcc_lo
	v_lshl_or_b32 v11, v8, 12, v2
	s_delay_alu instid0(VALU_DEP_2) | instskip(SKIP_2) | instid1(VALU_DEP_2)
	v_or_b32_e32 v7, v14, v7
	v_add_nc_u32_e32 v10, 0xfffffc10, v10
	v_cmp_gt_i32_e32 vcc_lo, 1, v8
	v_lshl_or_b32 v12, v10, 12, v4
	s_wait_alu 0xfffd
	v_cndmask_b32_e32 v9, v11, v9, vcc_lo
	v_cmp_gt_i32_e32 vcc_lo, 1, v10
	s_wait_alu 0xfffd
	v_cndmask_b32_e32 v7, v12, v7, vcc_lo
	v_cmp_ne_u32_e32 vcc_lo, 0, v2
	s_wait_alu 0xfffd
	v_cndmask_b32_e64 v2, 0, 1, vcc_lo
	v_cmp_ne_u32_e32 vcc_lo, 0, v4
	s_delay_alu instid0(VALU_DEP_2) | instskip(SKIP_4) | instid1(VALU_DEP_3)
	v_lshl_or_b32 v2, v2, 9, 0x7c00
	v_and_b32_e32 v11, 7, v9
	s_wait_alu 0xfffd
	v_cndmask_b32_e64 v4, 0, 1, vcc_lo
	v_lshrrev_b32_e32 v9, 2, v9
	v_cmp_lt_i32_e32 vcc_lo, 5, v11
	v_cmp_eq_u32_e64 s0, 3, v11
	s_delay_alu instid0(VALU_DEP_4) | instskip(NEXT) | instid1(VALU_DEP_2)
	v_lshl_or_b32 v4, v4, 9, 0x7c00
	s_or_b32 vcc_lo, s0, vcc_lo
	s_wait_alu 0xfffe
	v_add_co_ci_u32_e32 v9, vcc_lo, 0, v9, vcc_lo
	v_and_b32_e32 v12, 7, v7
	v_lshrrev_b32_e32 v7, 2, v7
	s_delay_alu instid0(VALU_DEP_2) | instskip(SKIP_1) | instid1(VALU_DEP_1)
	v_cmp_lt_i32_e64 s1, 5, v12
	v_cmp_eq_u32_e64 s2, 3, v12
	s_or_b32 vcc_lo, s2, s1
	s_wait_alu 0xfffe
	v_add_co_ci_u32_e32 v7, vcc_lo, 0, v7, vcc_lo
	v_cmp_gt_i32_e32 vcc_lo, 31, v8
	s_wait_alu 0xfffd
	v_cndmask_b32_e32 v9, 0x7c00, v9, vcc_lo
	v_cmp_gt_i32_e32 vcc_lo, 31, v10
	s_wait_alu 0xfffd
	v_cndmask_b32_e32 v7, 0x7c00, v7, vcc_lo
	v_cmp_eq_u32_e32 vcc_lo, 0x40f, v8
	s_wait_alu 0xfffd
	v_cndmask_b32_e32 v2, v9, v2, vcc_lo
	v_cmp_eq_u32_e32 vcc_lo, 0x40f, v10
	s_delay_alu instid0(VALU_DEP_2)
	v_and_or_b32 v2, 0x8000, v3, v2
	s_wait_alu 0xfffd
	v_cndmask_b32_e32 v4, v7, v4, vcc_lo
	v_add_co_u32 v0, vcc_lo, v0, s4
	s_wait_alu 0xfffd
	v_add_co_ci_u32_e32 v1, vcc_lo, s5, v1, vcc_lo
	s_delay_alu instid0(VALU_DEP_3) | instskip(SKIP_1) | instid1(VALU_DEP_1)
	v_and_or_b32 v3, 0x8000, v5, v4
	v_and_b32_e32 v2, 0xffff, v2
	v_lshl_or_b32 v2, v3, 16, v2
	s_wait_dscnt 0x0
	v_lshrrev_b32_e32 v3, 16, v6
	global_store_b32 v[0:1], v2, off
	global_load_b32 v2, v[24:25], off offset:6496
	s_wait_loadcnt 0x0
	v_lshrrev_b32_e32 v4, 16, v2
	s_delay_alu instid0(VALU_DEP_1) | instskip(SKIP_1) | instid1(VALU_DEP_2)
	v_mul_f16_e32 v5, v3, v4
	v_mul_f16_e32 v4, v6, v4
	v_fmac_f16_e32 v5, v6, v2
	s_delay_alu instid0(VALU_DEP_2) | instskip(NEXT) | instid1(VALU_DEP_2)
	v_fma_f16 v2, v2, v3, -v4
	v_cvt_f32_f16_e32 v3, v5
	s_delay_alu instid0(VALU_DEP_2) | instskip(NEXT) | instid1(VALU_DEP_2)
	v_cvt_f32_f16_e32 v4, v2
	v_cvt_f64_f32_e32 v[2:3], v3
	s_delay_alu instid0(VALU_DEP_2) | instskip(NEXT) | instid1(VALU_DEP_2)
	v_cvt_f64_f32_e32 v[4:5], v4
	v_mul_f64_e32 v[2:3], s[10:11], v[2:3]
	s_delay_alu instid0(VALU_DEP_2) | instskip(NEXT) | instid1(VALU_DEP_2)
	v_mul_f64_e32 v[4:5], s[10:11], v[4:5]
	v_and_or_b32 v2, 0x1ff, v3, v2
	s_delay_alu instid0(VALU_DEP_2)
	v_and_or_b32 v4, 0x1ff, v5, v4
	v_lshrrev_b32_e32 v6, 8, v3
	v_bfe_u32 v7, v3, 20, 11
	v_lshrrev_b32_e32 v8, 8, v5
	v_cmp_ne_u32_e32 vcc_lo, 0, v2
	v_bfe_u32 v9, v5, 20, 11
	v_lshrrev_b32_e32 v3, 16, v3
	v_sub_nc_u32_e32 v10, 0x3f1, v7
	v_lshrrev_b32_e32 v5, 16, v5
	s_wait_alu 0xfffd
	v_cndmask_b32_e64 v2, 0, 1, vcc_lo
	v_cmp_ne_u32_e32 vcc_lo, 0, v4
	s_delay_alu instid0(VALU_DEP_2) | instskip(SKIP_4) | instid1(VALU_DEP_3)
	v_and_or_b32 v2, 0xffe, v6, v2
	s_wait_alu 0xfffd
	v_cndmask_b32_e64 v4, 0, 1, vcc_lo
	v_sub_nc_u32_e32 v6, 0x3f1, v9
	v_add_nc_u32_e32 v9, 0xfffffc10, v9
	v_and_or_b32 v4, 0xffe, v8, v4
	v_med3_i32 v8, v10, 0, 13
	v_or_b32_e32 v10, 0x1000, v2
	v_med3_i32 v6, v6, 0, 13
	s_delay_alu instid0(VALU_DEP_4) | instskip(NEXT) | instid1(VALU_DEP_3)
	v_or_b32_e32 v11, 0x1000, v4
	v_lshrrev_b32_e32 v12, v8, v10
	s_delay_alu instid0(VALU_DEP_2) | instskip(NEXT) | instid1(VALU_DEP_2)
	v_lshrrev_b32_e32 v13, v6, v11
	v_lshlrev_b32_e32 v8, v8, v12
	s_delay_alu instid0(VALU_DEP_2) | instskip(NEXT) | instid1(VALU_DEP_2)
	v_lshlrev_b32_e32 v6, v6, v13
	v_cmp_ne_u32_e32 vcc_lo, v8, v10
	s_wait_alu 0xfffd
	v_cndmask_b32_e64 v8, 0, 1, vcc_lo
	s_delay_alu instid0(VALU_DEP_3) | instskip(SKIP_1) | instid1(VALU_DEP_3)
	v_cmp_ne_u32_e32 vcc_lo, v6, v11
	v_lshl_or_b32 v11, v9, 12, v4
	v_or_b32_e32 v8, v12, v8
	s_wait_alu 0xfffd
	v_cndmask_b32_e64 v6, 0, 1, vcc_lo
	s_delay_alu instid0(VALU_DEP_1) | instskip(SKIP_1) | instid1(VALU_DEP_1)
	v_or_b32_e32 v6, v13, v6
	v_add_nc_u32_e32 v7, 0xfffffc10, v7
	v_lshl_or_b32 v10, v7, 12, v2
	v_cmp_gt_i32_e32 vcc_lo, 1, v7
	s_wait_alu 0xfffd
	s_delay_alu instid0(VALU_DEP_2) | instskip(SKIP_1) | instid1(VALU_DEP_2)
	v_cndmask_b32_e32 v8, v10, v8, vcc_lo
	v_cmp_gt_i32_e32 vcc_lo, 1, v9
	v_and_b32_e32 v10, 7, v8
	s_wait_alu 0xfffd
	v_cndmask_b32_e32 v6, v11, v6, vcc_lo
	v_cmp_ne_u32_e32 vcc_lo, 0, v2
	v_lshrrev_b32_e32 v8, 2, v8
	v_cmp_eq_u32_e64 s0, 3, v10
	s_wait_alu 0xfffd
	v_cndmask_b32_e64 v2, 0, 1, vcc_lo
	v_cmp_ne_u32_e32 vcc_lo, 0, v4
	s_delay_alu instid0(VALU_DEP_2) | instskip(SKIP_3) | instid1(VALU_DEP_2)
	v_lshl_or_b32 v2, v2, 9, 0x7c00
	s_wait_alu 0xfffd
	v_cndmask_b32_e64 v4, 0, 1, vcc_lo
	v_cmp_lt_i32_e32 vcc_lo, 5, v10
	v_lshl_or_b32 v4, v4, 9, 0x7c00
	s_or_b32 vcc_lo, s0, vcc_lo
	s_wait_alu 0xfffe
	v_add_co_ci_u32_e32 v8, vcc_lo, 0, v8, vcc_lo
	v_and_b32_e32 v11, 7, v6
	v_lshrrev_b32_e32 v6, 2, v6
	s_delay_alu instid0(VALU_DEP_2) | instskip(SKIP_1) | instid1(VALU_DEP_1)
	v_cmp_lt_i32_e64 s1, 5, v11
	v_cmp_eq_u32_e64 s2, 3, v11
	s_or_b32 vcc_lo, s2, s1
	s_wait_alu 0xfffe
	v_add_co_ci_u32_e32 v6, vcc_lo, 0, v6, vcc_lo
	v_cmp_gt_i32_e32 vcc_lo, 31, v7
	s_wait_alu 0xfffd
	v_cndmask_b32_e32 v8, 0x7c00, v8, vcc_lo
	v_cmp_gt_i32_e32 vcc_lo, 31, v9
	s_wait_alu 0xfffd
	v_cndmask_b32_e32 v6, 0x7c00, v6, vcc_lo
	v_cmp_eq_u32_e32 vcc_lo, 0x40f, v7
	s_wait_alu 0xfffd
	v_cndmask_b32_e32 v2, v8, v2, vcc_lo
	v_cmp_eq_u32_e32 vcc_lo, 0x40f, v9
	s_delay_alu instid0(VALU_DEP_2)
	v_and_or_b32 v2, 0x8000, v3, v2
	s_wait_alu 0xfffd
	v_cndmask_b32_e32 v4, v6, v4, vcc_lo
	v_add_co_u32 v0, vcc_lo, v0, s6
	s_wait_alu 0xfffd
	v_add_co_ci_u32_e32 v1, vcc_lo, s7, v1, vcc_lo
	s_delay_alu instid0(VALU_DEP_3) | instskip(SKIP_1) | instid1(VALU_DEP_1)
	v_and_or_b32 v3, 0x8000, v5, v4
	v_and_b32_e32 v2, 0xffff, v2
	v_lshl_or_b32 v2, v3, 16, v2
	global_store_b32 v[0:1], v2, off
.LBB0_47:
	s_nop 0
	s_sendmsg sendmsg(MSG_DEALLOC_VGPRS)
	s_endpgm
	.section	.rodata,"a",@progbits
	.p2align	6, 0x0
	.amdhsa_kernel bluestein_single_fwd_len1680_dim1_half_op_CI_CI
		.amdhsa_group_segment_fixed_size 6720
		.amdhsa_private_segment_fixed_size 0
		.amdhsa_kernarg_size 104
		.amdhsa_user_sgpr_count 2
		.amdhsa_user_sgpr_dispatch_ptr 0
		.amdhsa_user_sgpr_queue_ptr 0
		.amdhsa_user_sgpr_kernarg_segment_ptr 1
		.amdhsa_user_sgpr_dispatch_id 0
		.amdhsa_user_sgpr_private_segment_size 0
		.amdhsa_wavefront_size32 1
		.amdhsa_uses_dynamic_stack 0
		.amdhsa_enable_private_segment 0
		.amdhsa_system_sgpr_workgroup_id_x 1
		.amdhsa_system_sgpr_workgroup_id_y 0
		.amdhsa_system_sgpr_workgroup_id_z 0
		.amdhsa_system_sgpr_workgroup_info 0
		.amdhsa_system_vgpr_workitem_id 0
		.amdhsa_next_free_vgpr 240
		.amdhsa_next_free_sgpr 18
		.amdhsa_reserve_vcc 1
		.amdhsa_float_round_mode_32 0
		.amdhsa_float_round_mode_16_64 0
		.amdhsa_float_denorm_mode_32 3
		.amdhsa_float_denorm_mode_16_64 3
		.amdhsa_fp16_overflow 0
		.amdhsa_workgroup_processor_mode 1
		.amdhsa_memory_ordered 1
		.amdhsa_forward_progress 0
		.amdhsa_round_robin_scheduling 0
		.amdhsa_exception_fp_ieee_invalid_op 0
		.amdhsa_exception_fp_denorm_src 0
		.amdhsa_exception_fp_ieee_div_zero 0
		.amdhsa_exception_fp_ieee_overflow 0
		.amdhsa_exception_fp_ieee_underflow 0
		.amdhsa_exception_fp_ieee_inexact 0
		.amdhsa_exception_int_div_zero 0
	.end_amdhsa_kernel
	.text
.Lfunc_end0:
	.size	bluestein_single_fwd_len1680_dim1_half_op_CI_CI, .Lfunc_end0-bluestein_single_fwd_len1680_dim1_half_op_CI_CI
                                        ; -- End function
	.section	.AMDGPU.csdata,"",@progbits
; Kernel info:
; codeLenInByte = 34324
; NumSgprs: 20
; NumVgprs: 240
; ScratchSize: 0
; MemoryBound: 0
; FloatMode: 240
; IeeeMode: 1
; LDSByteSize: 6720 bytes/workgroup (compile time only)
; SGPRBlocks: 2
; VGPRBlocks: 29
; NumSGPRsForWavesPerEU: 20
; NumVGPRsForWavesPerEU: 240
; Occupancy: 6
; WaveLimiterHint : 1
; COMPUTE_PGM_RSRC2:SCRATCH_EN: 0
; COMPUTE_PGM_RSRC2:USER_SGPR: 2
; COMPUTE_PGM_RSRC2:TRAP_HANDLER: 0
; COMPUTE_PGM_RSRC2:TGID_X_EN: 1
; COMPUTE_PGM_RSRC2:TGID_Y_EN: 0
; COMPUTE_PGM_RSRC2:TGID_Z_EN: 0
; COMPUTE_PGM_RSRC2:TIDIG_COMP_CNT: 0
	.text
	.p2alignl 7, 3214868480
	.fill 96, 4, 3214868480
	.type	__hip_cuid_c5128fa9f5c8f25e,@object ; @__hip_cuid_c5128fa9f5c8f25e
	.section	.bss,"aw",@nobits
	.globl	__hip_cuid_c5128fa9f5c8f25e
__hip_cuid_c5128fa9f5c8f25e:
	.byte	0                               ; 0x0
	.size	__hip_cuid_c5128fa9f5c8f25e, 1

	.ident	"AMD clang version 19.0.0git (https://github.com/RadeonOpenCompute/llvm-project roc-6.4.0 25133 c7fe45cf4b819c5991fe208aaa96edf142730f1d)"
	.section	".note.GNU-stack","",@progbits
	.addrsig
	.addrsig_sym __hip_cuid_c5128fa9f5c8f25e
	.amdgpu_metadata
---
amdhsa.kernels:
  - .args:
      - .actual_access:  read_only
        .address_space:  global
        .offset:         0
        .size:           8
        .value_kind:     global_buffer
      - .actual_access:  read_only
        .address_space:  global
        .offset:         8
        .size:           8
        .value_kind:     global_buffer
      - .actual_access:  read_only
        .address_space:  global
        .offset:         16
        .size:           8
        .value_kind:     global_buffer
      - .actual_access:  read_only
        .address_space:  global
        .offset:         24
        .size:           8
        .value_kind:     global_buffer
      - .actual_access:  read_only
        .address_space:  global
        .offset:         32
        .size:           8
        .value_kind:     global_buffer
      - .offset:         40
        .size:           8
        .value_kind:     by_value
      - .address_space:  global
        .offset:         48
        .size:           8
        .value_kind:     global_buffer
      - .address_space:  global
        .offset:         56
        .size:           8
        .value_kind:     global_buffer
      - .address_space:  global
        .offset:         64
        .size:           8
        .value_kind:     global_buffer
      - .address_space:  global
        .offset:         72
        .size:           8
        .value_kind:     global_buffer
      - .offset:         80
        .size:           4
        .value_kind:     by_value
      - .address_space:  global
        .offset:         88
        .size:           8
        .value_kind:     global_buffer
      - .address_space:  global
        .offset:         96
        .size:           8
        .value_kind:     global_buffer
    .group_segment_fixed_size: 6720
    .kernarg_segment_align: 8
    .kernarg_segment_size: 104
    .language:       OpenCL C
    .language_version:
      - 2
      - 0
    .max_flat_workgroup_size: 112
    .name:           bluestein_single_fwd_len1680_dim1_half_op_CI_CI
    .private_segment_fixed_size: 0
    .sgpr_count:     20
    .sgpr_spill_count: 0
    .symbol:         bluestein_single_fwd_len1680_dim1_half_op_CI_CI.kd
    .uniform_work_group_size: 1
    .uses_dynamic_stack: false
    .vgpr_count:     240
    .vgpr_spill_count: 0
    .wavefront_size: 32
    .workgroup_processor_mode: 1
amdhsa.target:   amdgcn-amd-amdhsa--gfx1201
amdhsa.version:
  - 1
  - 2
...

	.end_amdgpu_metadata
